;; amdgpu-corpus repo=ROCm/rocFFT kind=compiled arch=gfx1201 opt=O3
	.text
	.amdgcn_target "amdgcn-amd-amdhsa--gfx1201"
	.amdhsa_code_object_version 6
	.protected	bluestein_single_back_len1625_dim1_dp_op_CI_CI ; -- Begin function bluestein_single_back_len1625_dim1_dp_op_CI_CI
	.globl	bluestein_single_back_len1625_dim1_dp_op_CI_CI
	.p2align	8
	.type	bluestein_single_back_len1625_dim1_dp_op_CI_CI,@function
bluestein_single_back_len1625_dim1_dp_op_CI_CI: ; @bluestein_single_back_len1625_dim1_dp_op_CI_CI
; %bb.0:
	s_load_b128 s[12:15], s[0:1], 0x28
	v_mul_u32_u24_e32 v1, 0x3f1, v0
	v_mov_b32_e32 v7, 0
	s_mov_b32 s2, exec_lo
	s_delay_alu instid0(VALU_DEP_2) | instskip(NEXT) | instid1(VALU_DEP_1)
	v_lshrrev_b32_e32 v3, 16, v1
	v_lshl_add_u32 v6, ttmp9, 1, v3
	s_wait_kmcnt 0x0
	s_delay_alu instid0(VALU_DEP_1)
	v_cmpx_gt_u64_e64 s[12:13], v[6:7]
	s_cbranch_execz .LBB0_15
; %bb.1:
	s_clause 0x1
	s_load_b128 s[4:7], s[0:1], 0x18
	s_load_b64 s[12:13], s[0:1], 0x0
	v_mul_lo_u16 v1, 0x41, v3
	v_and_b32_e32 v3, 1, v3
	s_delay_alu instid0(VALU_DEP_2) | instskip(NEXT) | instid1(VALU_DEP_1)
	v_sub_nc_u16 v2, v0, v1
	v_and_b32_e32 v161, 0xffff, v2
	s_delay_alu instid0(VALU_DEP_1)
	v_dual_mov_b32 v7, v6 :: v_dual_lshlrev_b32 v124, 4, v161
	scratch_store_b64 off, v[7:8], off offset:24 ; 8-byte Folded Spill
	s_wait_kmcnt 0x0
	s_load_b128 s[8:11], s[4:5], 0x0
	s_clause 0x9
	global_load_b128 v[141:144], v124, s[12:13]
	global_load_b128 v[145:148], v124, s[12:13] offset:2000
	global_load_b128 v[108:111], v124, s[12:13] offset:4000
	;; [unrolled: 1-line block ×9, first 2 shown]
	s_wait_kmcnt 0x0
	v_mad_co_u64_u32 v[0:1], null, s10, v6, 0
	v_mad_co_u64_u32 v[4:5], null, s8, v161, 0
	s_mul_u64 s[2:3], s[8:9], 0x7d
	s_delay_alu instid0(VALU_DEP_2) | instskip(NEXT) | instid1(VALU_DEP_1)
	v_mad_co_u64_u32 v[6:7], null, s11, v6, v[1:2]
	v_mad_co_u64_u32 v[7:8], null, s9, v161, v[5:6]
	v_mov_b32_e32 v1, v6
	s_delay_alu instid0(VALU_DEP_1) | instskip(NEXT) | instid1(VALU_DEP_3)
	v_lshlrev_b64_e32 v[0:1], 4, v[0:1]
	v_mov_b32_e32 v5, v7
	s_delay_alu instid0(VALU_DEP_2) | instskip(NEXT) | instid1(VALU_DEP_2)
	v_add_co_u32 v0, vcc_lo, s14, v0
	v_lshlrev_b64_e32 v[4:5], 4, v[4:5]
	s_delay_alu instid0(VALU_DEP_4) | instskip(SKIP_1) | instid1(VALU_DEP_2)
	v_add_co_ci_u32_e32 v1, vcc_lo, s15, v1, vcc_lo
	s_lshl_b64 s[14:15], s[2:3], 4
	v_add_co_u32 v0, vcc_lo, v0, v4
	s_wait_alu 0xfffd
	s_delay_alu instid0(VALU_DEP_2) | instskip(SKIP_1) | instid1(VALU_DEP_2)
	v_add_co_ci_u32_e32 v1, vcc_lo, v1, v5, vcc_lo
	s_wait_alu 0xfffe
	v_add_co_u32 v8, vcc_lo, v0, s14
	s_wait_alu 0xfffd
	s_delay_alu instid0(VALU_DEP_2) | instskip(NEXT) | instid1(VALU_DEP_2)
	v_add_co_ci_u32_e32 v9, vcc_lo, s15, v1, vcc_lo
	v_add_co_u32 v12, vcc_lo, v8, s14
	s_wait_alu 0xfffd
	s_delay_alu instid0(VALU_DEP_2)
	v_add_co_ci_u32_e32 v13, vcc_lo, s15, v9, vcc_lo
	s_clause 0x1
	global_load_b128 v[4:7], v[0:1], off
	global_load_b128 v[8:11], v[8:9], off
	v_add_co_u32 v16, vcc_lo, v12, s14
	s_wait_alu 0xfffd
	v_add_co_ci_u32_e32 v17, vcc_lo, s15, v13, vcc_lo
	s_delay_alu instid0(VALU_DEP_2) | instskip(SKIP_1) | instid1(VALU_DEP_2)
	v_add_co_u32 v0, vcc_lo, v16, s14
	s_wait_alu 0xfffd
	v_add_co_ci_u32_e32 v1, vcc_lo, s15, v17, vcc_lo
	s_clause 0x1
	global_load_b128 v[12:15], v[12:13], off
	global_load_b128 v[16:19], v[16:17], off
	v_add_co_u32 v24, vcc_lo, v0, s14
	s_wait_alu 0xfffd
	v_add_co_ci_u32_e32 v25, vcc_lo, s15, v1, vcc_lo
	global_load_b128 v[20:23], v[0:1], off
	v_add_co_u32 v0, vcc_lo, v24, s14
	s_wait_alu 0xfffd
	v_add_co_ci_u32_e32 v1, vcc_lo, s15, v25, vcc_lo
	;; [unrolled: 4-line block ×8, first 2 shown]
	s_clause 0x1
	global_load_b128 v[157:160], v124, s[12:13] offset:20000
	global_load_b128 v[153:156], v124, s[12:13] offset:22000
	global_load_b128 v[48:51], v[48:49], off
	global_load_b128 v[149:152], v124, s[12:13] offset:24000
	global_load_b128 v[52:55], v[0:1], off
	v_cmp_eq_u32_e32 vcc_lo, 1, v3
	s_wait_alu 0xfffd
	v_cndmask_b32_e64 v3, 0, 0x659, vcc_lo
	v_cmp_gt_u16_e32 vcc_lo, 60, v2
	s_delay_alu instid0(VALU_DEP_2) | instskip(NEXT) | instid1(VALU_DEP_1)
	v_lshlrev_b32_e32 v231, 4, v3
	v_add_nc_u32_e32 v162, v231, v124
	s_wait_loadcnt 0x17
	scratch_store_b128 off, v[108:111], off offset:32 ; 16-byte Folded Spill
	s_wait_loadcnt 0x16
	s_clause 0x2
	scratch_store_b128 off, v[112:115], off offset:48
	scratch_store_b128 off, v[141:144], off offset:160
	;; [unrolled: 1-line block ×3, first 2 shown]
	s_wait_loadcnt 0x15
	scratch_store_b128 off, v[116:119], off offset:64 ; 16-byte Folded Spill
	s_wait_loadcnt 0x14
	scratch_store_b128 off, v[120:123], off offset:80 ; 16-byte Folded Spill
	;; [unrolled: 2-line block ×6, first 2 shown]
	s_wait_loadcnt 0xf
	v_mul_f64_e32 v[56:57], v[6:7], v[143:144]
	v_mul_f64_e32 v[58:59], v[4:5], v[143:144]
	s_wait_loadcnt 0xe
	v_mul_f64_e32 v[60:61], v[10:11], v[147:148]
	v_mul_f64_e32 v[62:63], v[8:9], v[147:148]
	;; [unrolled: 3-line block ×9, first 2 shown]
	v_fma_f64 v[4:5], v[4:5], v[141:142], v[56:57]
	v_fma_f64 v[6:7], v[6:7], v[141:142], -v[58:59]
	v_fma_f64 v[8:9], v[8:9], v[145:146], v[60:61]
	s_wait_loadcnt 0x6
	v_mul_f64_e32 v[92:93], v[42:43], v[139:140]
	v_mul_f64_e32 v[94:95], v[40:41], v[139:140]
	v_fma_f64 v[10:11], v[10:11], v[145:146], -v[62:63]
	v_add_co_u32 v56, s2, s12, v124
	s_delay_alu instid0(VALU_DEP_1)
	v_add_co_ci_u32_e64 v57, null, s13, 0, s2
	s_wait_loadcnt 0x4
	v_mul_f64_e32 v[96:97], v[46:47], v[159:160]
	v_mul_f64_e32 v[98:99], v[44:45], v[159:160]
	s_wait_loadcnt 0x2
	v_mul_f64_e32 v[100:101], v[50:51], v[155:156]
	v_mul_f64_e32 v[102:103], v[48:49], v[155:156]
	;; [unrolled: 3-line block ×3, first 2 shown]
	v_fma_f64 v[12:13], v[12:13], v[108:109], v[64:65]
	v_fma_f64 v[14:15], v[14:15], v[108:109], -v[66:67]
	v_fma_f64 v[16:17], v[16:17], v[112:113], v[68:69]
	v_fma_f64 v[18:19], v[18:19], v[112:113], -v[70:71]
	;; [unrolled: 2-line block ×4, first 2 shown]
	s_clause 0x2
	scratch_store_b128 off, v[157:160], off offset:224
	scratch_store_b128 off, v[153:156], off offset:208
	;; [unrolled: 1-line block ×3, first 2 shown]
	v_fma_f64 v[28:29], v[28:29], v[125:126], v[80:81]
	v_fma_f64 v[30:31], v[30:31], v[125:126], -v[82:83]
	s_load_b64 s[10:11], s[0:1], 0x38
	s_load_b128 s[4:7], s[6:7], 0x0
	scratch_store_b64 off, v[56:57], off    ; 8-byte Folded Spill
	v_fma_f64 v[32:33], v[32:33], v[129:130], v[84:85]
	v_fma_f64 v[34:35], v[34:35], v[129:130], -v[86:87]
	ds_store_b128 v162, v[4:7]
	ds_store_b128 v162, v[8:11] offset:2000
	ds_store_b128 v162, v[12:15] offset:4000
	;; [unrolled: 1-line block ×7, first 2 shown]
	v_fma_f64 v[36:37], v[36:37], v[133:134], v[88:89]
	v_fma_f64 v[38:39], v[38:39], v[133:134], -v[90:91]
	v_fma_f64 v[40:41], v[40:41], v[137:138], v[92:93]
	v_fma_f64 v[42:43], v[42:43], v[137:138], -v[94:95]
	;; [unrolled: 2-line block ×5, first 2 shown]
	ds_store_b128 v162, v[36:39] offset:16000
	ds_store_b128 v162, v[40:43] offset:18000
	ds_store_b128 v162, v[44:47] offset:20000
	ds_store_b128 v162, v[48:51] offset:22000
	ds_store_b128 v162, v[52:55] offset:24000
	s_and_saveexec_b32 s3, vcc_lo
	s_cbranch_execz .LBB0_3
; %bb.2:
	scratch_load_b64 v[96:97], off, off     ; 8-byte Folded Reload
	v_mad_co_u64_u32 v[32:33], null, 0xffffa650, s8, v[0:1]
	s_mul_i32 s2, s9, 0xffffa650
	s_wait_loadcnt 0x0
	s_clause 0x1
	global_load_b128 v[0:3], v[96:97], off offset:1040
	global_load_b128 v[4:7], v[96:97], off offset:3040
	s_wait_alu 0xfffe
	s_sub_co_i32 s2, s2, s8
	s_clause 0x1
	global_load_b128 v[8:11], v[96:97], off offset:5040
	global_load_b128 v[12:15], v[96:97], off offset:7040
	s_wait_alu 0xfffe
	v_add_nc_u32_e32 v33, s2, v33
	v_add_co_u32 v36, s2, v32, s14
	s_clause 0x3
	global_load_b128 v[16:19], v[96:97], off offset:9040
	global_load_b128 v[20:23], v[96:97], off offset:11040
	;; [unrolled: 1-line block ×4, first 2 shown]
	s_wait_alu 0xf1ff
	v_add_co_ci_u32_e64 v37, s2, s15, v33, s2
	v_add_co_u32 v40, s2, v36, s14
	global_load_b128 v[32:35], v[32:33], off
	s_wait_alu 0xf1ff
	v_add_co_ci_u32_e64 v41, s2, s15, v37, s2
	v_add_co_u32 v44, s2, v40, s14
	global_load_b128 v[36:39], v[36:37], off
	;; [unrolled: 4-line block ×5, first 2 shown]
	s_wait_alu 0xf1ff
	v_add_co_ci_u32_e64 v57, s2, s15, v53, s2
	v_add_co_u32 v60, s2, v56, s14
	s_wait_alu 0xf1ff
	s_delay_alu instid0(VALU_DEP_2) | instskip(NEXT) | instid1(VALU_DEP_2)
	v_add_co_ci_u32_e64 v61, s2, s15, v57, s2
	v_add_co_u32 v64, s2, v60, s14
	s_wait_alu 0xf1ff
	s_delay_alu instid0(VALU_DEP_2) | instskip(NEXT) | instid1(VALU_DEP_2)
	;; [unrolled: 4-line block ×3, first 2 shown]
	v_add_co_ci_u32_e64 v73, s2, s15, v65, s2
	v_add_co_u32 v80, s2, v72, s14
	global_load_b128 v[52:55], v[52:53], off
	global_load_b128 v[56:59], v[56:57], off
	;; [unrolled: 1-line block ×5, first 2 shown]
	s_wait_alu 0xf1ff
	v_add_co_ci_u32_e64 v81, s2, s15, v73, s2
	v_add_co_u32 v88, s2, v80, s14
	s_clause 0x1
	global_load_b128 v[72:75], v[96:97], off offset:17040
	global_load_b128 v[76:79], v[96:97], off offset:19040
	s_wait_alu 0xf1ff
	v_add_co_ci_u32_e64 v89, s2, s15, v81, s2
	v_add_co_u32 v100, s2, v88, s14
	global_load_b128 v[80:83], v[80:81], off
	s_wait_alu 0xf1ff
	v_add_co_ci_u32_e64 v101, s2, s15, v89, s2
	global_load_b128 v[84:87], v[96:97], off offset:21040
	global_load_b128 v[88:91], v[88:89], off
	s_clause 0x1
	global_load_b128 v[92:95], v[96:97], off offset:23040
	global_load_b128 v[96:99], v[96:97], off offset:25040
	global_load_b128 v[100:103], v[100:101], off
	s_wait_loadcnt 0x11
	v_mul_f64_e32 v[104:105], v[34:35], v[2:3]
	v_mul_f64_e32 v[2:3], v[32:33], v[2:3]
	s_wait_loadcnt 0x10
	v_mul_f64_e32 v[106:107], v[38:39], v[6:7]
	v_mul_f64_e32 v[6:7], v[36:37], v[6:7]
	;; [unrolled: 3-line block ×8, first 2 shown]
	v_fma_f64 v[30:31], v[32:33], v[0:1], v[104:105]
	v_fma_f64 v[32:33], v[34:35], v[0:1], -v[2:3]
	s_wait_loadcnt 0x7
	v_mul_f64_e32 v[122:123], v[66:67], v[74:75]
	v_mul_f64_e32 v[74:75], v[64:65], v[74:75]
	s_wait_loadcnt 0x6
	v_mul_f64_e32 v[125:126], v[70:71], v[78:79]
	v_mul_f64_e32 v[78:79], v[68:69], v[78:79]
	v_fma_f64 v[0:1], v[36:37], v[4:5], v[106:107]
	v_fma_f64 v[2:3], v[38:39], v[4:5], -v[6:7]
	s_wait_loadcnt 0x4
	v_mul_f64_e32 v[127:128], v[82:83], v[86:87]
	v_mul_f64_e32 v[86:87], v[80:81], v[86:87]
	s_wait_loadcnt 0x2
	v_mul_f64_e32 v[129:130], v[90:91], v[94:95]
	v_mul_f64_e32 v[94:95], v[88:89], v[94:95]
	;; [unrolled: 3-line block ×3, first 2 shown]
	v_fma_f64 v[4:5], v[40:41], v[8:9], v[108:109]
	v_fma_f64 v[6:7], v[42:43], v[8:9], -v[10:11]
	v_fma_f64 v[8:9], v[44:45], v[12:13], v[110:111]
	v_fma_f64 v[10:11], v[46:47], v[12:13], -v[14:15]
	v_fma_f64 v[12:13], v[48:49], v[16:17], v[112:113]
	v_fma_f64 v[14:15], v[50:51], v[16:17], -v[18:19]
	v_fma_f64 v[16:17], v[52:53], v[20:21], v[114:115]
	v_fma_f64 v[18:19], v[54:55], v[20:21], -v[22:23]
	v_fma_f64 v[20:21], v[56:57], v[24:25], v[116:117]
	v_fma_f64 v[22:23], v[58:59], v[24:25], -v[26:27]
	v_fma_f64 v[24:25], v[60:61], v[28:29], v[118:119]
	v_fma_f64 v[26:27], v[62:63], v[28:29], -v[120:121]
	v_fma_f64 v[34:35], v[64:65], v[72:73], v[122:123]
	v_fma_f64 v[36:37], v[66:67], v[72:73], -v[74:75]
	v_fma_f64 v[38:39], v[68:69], v[76:77], v[125:126]
	v_fma_f64 v[40:41], v[70:71], v[76:77], -v[78:79]
	v_fma_f64 v[42:43], v[80:81], v[84:85], v[127:128]
	v_fma_f64 v[44:45], v[82:83], v[84:85], -v[86:87]
	v_fma_f64 v[46:47], v[88:89], v[92:93], v[129:130]
	v_fma_f64 v[48:49], v[90:91], v[92:93], -v[94:95]
	v_fma_f64 v[50:51], v[100:101], v[96:97], v[131:132]
	v_fma_f64 v[52:53], v[102:103], v[96:97], -v[98:99]
	ds_store_b128 v162, v[30:33] offset:1040
	ds_store_b128 v162, v[0:3] offset:3040
	;; [unrolled: 1-line block ×13, first 2 shown]
.LBB0_3:
	s_wait_alu 0xfffe
	s_or_b32 exec_lo, exec_lo, s3
	global_wb scope:SCOPE_SE
	s_wait_storecnt_dscnt 0x0
	s_wait_kmcnt 0x0
	s_barrier_signal -1
	s_barrier_wait -1
	global_inv scope:SCOPE_SE
	ds_load_b128 v[52:55], v162
	ds_load_b128 v[60:63], v162 offset:2000
	ds_load_b128 v[64:67], v162 offset:4000
	ds_load_b128 v[68:71], v162 offset:6000
	ds_load_b128 v[80:83], v162 offset:8000
	ds_load_b128 v[88:91], v162 offset:10000
	ds_load_b128 v[100:103], v162 offset:12000
	ds_load_b128 v[96:99], v162 offset:14000
	ds_load_b128 v[92:95], v162 offset:16000
	ds_load_b128 v[84:87], v162 offset:18000
	ds_load_b128 v[76:79], v162 offset:20000
	ds_load_b128 v[72:75], v162 offset:22000
	ds_load_b128 v[56:59], v162 offset:24000
	s_load_b64 s[0:1], s[0:1], 0x8
                                        ; implicit-def: $vgpr16_vgpr17
                                        ; implicit-def: $vgpr36_vgpr37
                                        ; implicit-def: $vgpr40_vgpr41
                                        ; implicit-def: $vgpr48_vgpr49
                                        ; implicit-def: $vgpr44_vgpr45
                                        ; implicit-def: $vgpr32_vgpr33
                                        ; implicit-def: $vgpr28_vgpr29
                                        ; implicit-def: $vgpr24_vgpr25
                                        ; implicit-def: $vgpr20_vgpr21
                                        ; implicit-def: $vgpr12_vgpr13
                                        ; implicit-def: $vgpr8_vgpr9
                                        ; implicit-def: $vgpr4_vgpr5
                                        ; implicit-def: $vgpr0_vgpr1
	s_and_saveexec_b32 s2, vcc_lo
	s_cbranch_execz .LBB0_5
; %bb.4:
	ds_load_b128 v[16:19], v162 offset:1040
	ds_load_b128 v[36:39], v162 offset:3040
	;; [unrolled: 1-line block ×13, first 2 shown]
.LBB0_5:
	s_wait_alu 0xfffe
	s_or_b32 exec_lo, exec_lo, s2
	s_wait_dscnt 0xb
	v_add_f64_e32 v[104:105], v[52:53], v[60:61]
	v_add_f64_e32 v[106:107], v[54:55], v[62:63]
	s_wait_dscnt 0x5
	v_add_f64_e64 v[108:109], v[100:101], -v[96:97]
	v_add_f64_e64 v[110:111], v[102:103], -v[98:99]
	s_mov_b32 s22, 0x4267c47c
	s_mov_b32 s30, 0x42a4c3d2
	;; [unrolled: 1-line block ×34, first 2 shown]
	v_add_f64_e32 v[104:105], v[104:105], v[64:65]
	v_add_f64_e32 v[106:107], v[106:107], v[66:67]
	s_mov_b32 s47, 0x3fea55e2
	v_mul_f64_e32 v[157:158], s[34:35], v[110:111]
	v_mul_f64_e32 v[183:184], s[44:45], v[110:111]
	;; [unrolled: 1-line block ×3, first 2 shown]
	s_mov_b32 s46, s30
	v_mul_f64_e32 v[229:230], s[28:29], v[110:111]
	v_mul_f64_e32 v[213:214], s[46:47], v[110:111]
	;; [unrolled: 1-line block ×3, first 2 shown]
	v_add_f64_e32 v[104:105], v[104:105], v[68:69]
	v_add_f64_e32 v[106:107], v[106:107], v[70:71]
	s_delay_alu instid0(VALU_DEP_2) | instskip(NEXT) | instid1(VALU_DEP_2)
	v_add_f64_e32 v[104:105], v[104:105], v[80:81]
	v_add_f64_e32 v[106:107], v[106:107], v[82:83]
	s_delay_alu instid0(VALU_DEP_2) | instskip(NEXT) | instid1(VALU_DEP_2)
	;; [unrolled: 3-line block ×3, first 2 shown]
	v_add_f64_e32 v[104:105], v[104:105], v[100:101]
	v_add_f64_e32 v[106:107], v[106:107], v[102:103]
	;; [unrolled: 1-line block ×4, first 2 shown]
	s_delay_alu instid0(VALU_DEP_4) | instskip(NEXT) | instid1(VALU_DEP_4)
	v_add_f64_e32 v[96:97], v[104:105], v[96:97]
	v_add_f64_e32 v[98:99], v[106:107], v[98:99]
	s_wait_dscnt 0x4
	v_add_f64_e32 v[104:105], v[88:89], v[92:93]
	v_add_f64_e32 v[106:107], v[90:91], v[94:95]
	v_add_f64_e64 v[88:89], v[88:89], -v[92:93]
	v_add_f64_e64 v[90:91], v[90:91], -v[94:95]
	v_add_f64_e32 v[92:93], v[96:97], v[92:93]
	v_add_f64_e32 v[94:95], v[98:99], v[94:95]
	s_wait_dscnt 0x3
	v_add_f64_e32 v[96:97], v[80:81], v[84:85]
	v_add_f64_e32 v[98:99], v[82:83], v[86:87]
	v_add_f64_e64 v[80:81], v[80:81], -v[84:85]
	v_add_f64_e64 v[82:83], v[82:83], -v[86:87]
	v_mul_f64_e32 v[179:180], s[40:41], v[90:91]
	v_mul_f64_e32 v[181:182], s[40:41], v[88:89]
	;; [unrolled: 1-line block ×8, first 2 shown]
	v_add_f64_e32 v[84:85], v[92:93], v[84:85]
	v_add_f64_e32 v[86:87], v[94:95], v[86:87]
	s_wait_dscnt 0x2
	v_add_f64_e32 v[92:93], v[68:69], v[76:77]
	v_add_f64_e32 v[94:95], v[70:71], v[78:79]
	v_add_f64_e64 v[68:69], v[68:69], -v[76:77]
	v_add_f64_e64 v[70:71], v[70:71], -v[78:79]
	v_mul_f64_e32 v[177:178], s[36:37], v[80:81]
	v_mul_f64_e32 v[189:190], s[44:45], v[82:83]
	;; [unrolled: 1-line block ×7, first 2 shown]
	v_add_f64_e32 v[76:77], v[84:85], v[76:77]
	v_add_f64_e32 v[78:79], v[86:87], v[78:79]
	s_wait_dscnt 0x1
	v_add_f64_e32 v[84:85], v[64:65], v[72:73]
	v_add_f64_e32 v[86:87], v[66:67], v[74:75]
	v_add_f64_e64 v[64:65], v[64:65], -v[72:73]
	v_add_f64_e64 v[66:67], v[66:67], -v[74:75]
	v_mul_f64_e32 v[185:186], s[38:39], v[70:71]
	v_mul_f64_e32 v[187:188], s[38:39], v[68:69]
	;; [unrolled: 1-line block ×6, first 2 shown]
	v_add_f64_e32 v[72:73], v[76:77], v[72:73]
	v_add_f64_e32 v[74:75], v[78:79], v[74:75]
	s_wait_dscnt 0x0
	v_add_f64_e64 v[76:77], v[62:63], -v[58:59]
	v_add_f64_e32 v[78:79], v[60:61], v[56:57]
	v_add_f64_e32 v[62:63], v[62:63], v[58:59]
	v_add_f64_e64 v[60:61], v[60:61], -v[56:57]
	v_mul_f64_e32 v[175:176], s[34:35], v[64:65]
	v_mul_f64_e32 v[171:172], s[36:37], v[66:67]
	;; [unrolled: 1-line block ×5, first 2 shown]
	v_add_f64_e32 v[125:126], v[72:73], v[56:57]
	v_add_f64_e32 v[127:128], v[74:75], v[58:59]
	v_mul_f64_e32 v[56:57], s[22:23], v[76:77]
	v_mul_f64_e32 v[58:59], s[30:31], v[76:77]
	;; [unrolled: 1-line block ×10, first 2 shown]
	v_fma_f64 v[114:115], v[78:79], s[20:21], -v[56:57]
	v_fma_f64 v[56:57], v[78:79], s[20:21], v[56:57]
	v_fma_f64 v[116:117], v[78:79], s[16:17], -v[58:59]
	v_fma_f64 v[58:59], v[78:79], s[16:17], v[58:59]
	;; [unrolled: 2-line block ×3, first 2 shown]
	s_wait_alu 0xfffe
	v_fma_f64 v[120:121], v[78:79], s[14:15], -v[74:75]
	v_fma_f64 v[74:75], v[78:79], s[14:15], v[74:75]
	v_fma_f64 v[122:123], v[78:79], s[8:9], -v[112:113]
	v_fma_f64 v[112:113], v[78:79], s[8:9], v[112:113]
	;; [unrolled: 2-line block ×3, first 2 shown]
	v_mul_f64_e32 v[78:79], s[22:23], v[60:61]
	v_mul_f64_e32 v[60:61], s[34:35], v[60:61]
	v_fma_f64 v[141:142], v[62:63], s[16:17], v[131:132]
	v_fma_f64 v[131:132], v[62:63], s[16:17], -v[131:132]
	v_fma_f64 v[143:144], v[62:63], s[18:19], v[133:134]
	v_fma_f64 v[133:134], v[62:63], s[18:19], -v[133:134]
	;; [unrolled: 2-line block ×4, first 2 shown]
	v_add_f64_e32 v[56:57], v[52:53], v[56:57]
	v_add_f64_e32 v[116:117], v[52:53], v[116:117]
	;; [unrolled: 1-line block ×10, first 2 shown]
	v_fma_f64 v[139:140], v[62:63], s[20:21], v[78:79]
	v_fma_f64 v[78:79], v[62:63], s[20:21], -v[78:79]
	v_fma_f64 v[149:150], v[62:63], s[2:3], v[60:61]
	v_fma_f64 v[60:61], v[62:63], s[2:3], -v[60:61]
	v_add_f64_e32 v[62:63], v[52:53], v[114:115]
	v_add_f64_e32 v[167:168], v[54:55], v[131:132]
	v_add_f64_e32 v[173:174], v[54:55], v[133:134]
	v_add_f64_e32 v[145:146], v[54:55], v[145:146]
	v_add_f64_e32 v[169:170], v[54:55], v[135:136]
	v_add_f64_e32 v[151:152], v[54:55], v[147:148]
	v_add_f64_e32 v[163:164], v[54:55], v[137:138]
	v_add_f64_e32 v[52:53], v[52:53], v[76:77]
	v_mul_f64_e32 v[133:134], s[24:25], v[70:71]
	v_mul_f64_e32 v[135:136], s[24:25], v[68:69]
	;; [unrolled: 1-line block ×5, first 2 shown]
	v_add_f64_e32 v[114:115], v[54:55], v[139:140]
	v_add_f64_e32 v[78:79], v[54:55], v[78:79]
	;; [unrolled: 1-line block ×6, first 2 shown]
	v_mul_f64_e32 v[60:61], s[30:31], v[66:67]
	v_mul_f64_e32 v[143:144], s[28:29], v[80:81]
	;; [unrolled: 1-line block ×5, first 2 shown]
	v_fma_f64 v[76:77], v[84:85], s[16:17], -v[60:61]
	v_fma_f64 v[60:61], v[84:85], s[16:17], v[60:61]
	s_delay_alu instid0(VALU_DEP_2) | instskip(SKIP_1) | instid1(VALU_DEP_3)
	v_add_f64_e32 v[62:63], v[76:77], v[62:63]
	v_mul_f64_e32 v[76:77], s[30:31], v[64:65]
	v_add_f64_e32 v[56:57], v[60:61], v[56:57]
	s_delay_alu instid0(VALU_DEP_2) | instskip(SKIP_2) | instid1(VALU_DEP_3)
	v_fma_f64 v[129:130], v[86:87], s[16:17], v[76:77]
	v_fma_f64 v[60:61], v[86:87], s[16:17], -v[76:77]
	v_fma_f64 v[76:77], v[92:93], s[18:19], v[133:134]
	v_add_f64_e32 v[114:115], v[129:130], v[114:115]
	v_fma_f64 v[129:130], v[92:93], s[18:19], -v[133:134]
	s_delay_alu instid0(VALU_DEP_4) | instskip(NEXT) | instid1(VALU_DEP_4)
	v_add_f64_e32 v[60:61], v[60:61], v[78:79]
	v_add_f64_e32 v[56:57], v[76:77], v[56:57]
	v_fma_f64 v[76:77], v[94:95], s[18:19], -v[135:136]
	v_mul_f64_e32 v[78:79], s[34:35], v[70:71]
	v_mul_f64_e32 v[70:71], s[26:27], v[70:71]
	v_add_f64_e32 v[62:63], v[129:130], v[62:63]
	v_fma_f64 v[129:130], v[94:95], s[18:19], v[135:136]
	v_add_f64_e32 v[60:61], v[76:77], v[60:61]
	v_fma_f64 v[76:77], v[96:97], s[14:15], v[137:138]
	s_delay_alu instid0(VALU_DEP_3) | instskip(SKIP_1) | instid1(VALU_DEP_3)
	v_add_f64_e32 v[114:115], v[129:130], v[114:115]
	v_fma_f64 v[129:130], v[96:97], s[14:15], -v[137:138]
	v_add_f64_e32 v[56:57], v[76:77], v[56:57]
	v_fma_f64 v[76:77], v[98:99], s[14:15], -v[143:144]
	s_delay_alu instid0(VALU_DEP_3) | instskip(SKIP_1) | instid1(VALU_DEP_3)
	v_add_f64_e32 v[62:63], v[129:130], v[62:63]
	v_fma_f64 v[129:130], v[98:99], s[14:15], v[143:144]
	v_add_f64_e32 v[60:61], v[76:77], v[60:61]
	v_fma_f64 v[76:77], v[104:105], s[8:9], v[147:148]
	s_delay_alu instid0(VALU_DEP_3) | instskip(SKIP_1) | instid1(VALU_DEP_3)
	v_add_f64_e32 v[114:115], v[129:130], v[114:115]
	v_fma_f64 v[129:130], v[104:105], s[8:9], -v[147:148]
	v_add_f64_e32 v[56:57], v[76:77], v[56:57]
	v_fma_f64 v[76:77], v[106:107], s[8:9], -v[149:150]
	s_delay_alu instid0(VALU_DEP_3) | instskip(SKIP_1) | instid1(VALU_DEP_3)
	v_add_f64_e32 v[62:63], v[129:130], v[62:63]
	v_fma_f64 v[129:130], v[106:107], s[8:9], v[149:150]
	v_add_f64_e32 v[60:61], v[76:77], v[60:61]
	v_fma_f64 v[76:77], v[100:101], s[2:3], v[157:158]
	s_delay_alu instid0(VALU_DEP_3) | instskip(SKIP_1) | instid1(VALU_DEP_3)
	v_add_f64_e32 v[114:115], v[129:130], v[114:115]
	v_fma_f64 v[129:130], v[100:101], s[2:3], -v[157:158]
	v_add_f64_e32 v[133:134], v[76:77], v[56:57]
	v_mul_f64_e32 v[56:57], s[28:29], v[66:67]
	s_delay_alu instid0(VALU_DEP_3) | instskip(SKIP_1) | instid1(VALU_DEP_1)
	v_add_f64_e32 v[129:130], v[129:130], v[62:63]
	v_mul_f64_e32 v[62:63], s[34:35], v[108:109]
	v_fma_f64 v[131:132], v[102:103], s[2:3], v[62:63]
	v_fma_f64 v[62:63], v[102:103], s[2:3], -v[62:63]
	s_delay_alu instid0(VALU_DEP_2) | instskip(NEXT) | instid1(VALU_DEP_2)
	v_add_f64_e32 v[131:132], v[131:132], v[114:115]
	v_add_f64_e32 v[135:136], v[62:63], v[60:61]
	v_fma_f64 v[60:61], v[84:85], s[14:15], -v[56:57]
	v_mul_f64_e32 v[62:63], s[28:29], v[64:65]
	v_fma_f64 v[114:115], v[92:93], s[2:3], -v[78:79]
	v_mul_f64_e32 v[64:65], s[44:45], v[64:65]
	s_delay_alu instid0(VALU_DEP_4) | instskip(NEXT) | instid1(VALU_DEP_4)
	v_add_f64_e32 v[60:61], v[60:61], v[116:117]
	v_fma_f64 v[76:77], v[86:87], s[14:15], v[62:63]
	s_delay_alu instid0(VALU_DEP_2) | instskip(SKIP_1) | instid1(VALU_DEP_3)
	v_add_f64_e32 v[60:61], v[114:115], v[60:61]
	v_mul_f64_e32 v[114:115], s[34:35], v[68:69]
	v_add_f64_e32 v[76:77], v[76:77], v[139:140]
	v_mul_f64_e32 v[68:69], s[26:27], v[68:69]
	s_delay_alu instid0(VALU_DEP_3) | instskip(NEXT) | instid1(VALU_DEP_1)
	v_fma_f64 v[116:117], v[94:95], s[2:3], v[114:115]
	v_add_f64_e32 v[76:77], v[116:117], v[76:77]
	v_mul_f64_e32 v[116:117], s[36:37], v[82:83]
	v_mul_f64_e32 v[82:83], s[46:47], v[82:83]
	s_delay_alu instid0(VALU_DEP_2) | instskip(NEXT) | instid1(VALU_DEP_1)
	v_fma_f64 v[137:138], v[96:97], s[8:9], -v[116:117]
	v_add_f64_e32 v[60:61], v[137:138], v[60:61]
	v_fma_f64 v[137:138], v[98:99], s[8:9], v[177:178]
	s_delay_alu instid0(VALU_DEP_1) | instskip(SKIP_1) | instid1(VALU_DEP_1)
	v_add_f64_e32 v[76:77], v[137:138], v[76:77]
	v_fma_f64 v[137:138], v[104:105], s[18:19], -v[179:180]
	v_add_f64_e32 v[60:61], v[137:138], v[60:61]
	v_fma_f64 v[137:138], v[106:107], s[18:19], v[181:182]
	s_delay_alu instid0(VALU_DEP_1) | instskip(SKIP_1) | instid1(VALU_DEP_1)
	v_add_f64_e32 v[76:77], v[137:138], v[76:77]
	v_fma_f64 v[137:138], v[100:101], s[20:21], -v[183:184]
	v_add_f64_e32 v[137:138], v[137:138], v[60:61]
	v_mul_f64_e32 v[60:61], s[44:45], v[108:109]
	s_delay_alu instid0(VALU_DEP_1) | instskip(NEXT) | instid1(VALU_DEP_1)
	v_fma_f64 v[139:140], v[102:103], s[20:21], v[60:61]
	v_add_f64_e32 v[139:140], v[139:140], v[76:77]
	v_mul_f64_e32 v[76:77], s[34:35], v[66:67]
	v_mul_f64_e32 v[66:67], s[44:45], v[66:67]
	s_delay_alu instid0(VALU_DEP_2) | instskip(NEXT) | instid1(VALU_DEP_1)
	v_fma_f64 v[143:144], v[84:85], s[2:3], -v[76:77]
	v_add_f64_e32 v[118:119], v[143:144], v[118:119]
	v_fma_f64 v[143:144], v[86:87], s[2:3], v[175:176]
	s_delay_alu instid0(VALU_DEP_1) | instskip(SKIP_1) | instid1(VALU_DEP_1)
	v_add_f64_e32 v[141:142], v[143:144], v[141:142]
	v_fma_f64 v[143:144], v[92:93], s[14:15], -v[185:186]
	v_add_f64_e32 v[118:119], v[143:144], v[118:119]
	v_fma_f64 v[143:144], v[94:95], s[14:15], v[187:188]
	s_delay_alu instid0(VALU_DEP_1) | instskip(SKIP_1) | instid1(VALU_DEP_1)
	v_add_f64_e32 v[141:142], v[143:144], v[141:142]
	v_fma_f64 v[143:144], v[96:97], s[20:21], -v[189:190]
	v_add_f64_e32 v[118:119], v[143:144], v[118:119]
	v_fma_f64 v[143:144], v[98:99], s[20:21], v[191:192]
	s_delay_alu instid0(VALU_DEP_1) | instskip(SKIP_1) | instid1(VALU_DEP_1)
	v_add_f64_e32 v[141:142], v[143:144], v[141:142]
	v_fma_f64 v[143:144], v[104:105], s[16:17], -v[193:194]
	v_add_f64_e32 v[118:119], v[143:144], v[118:119]
	v_fma_f64 v[143:144], v[106:107], s[16:17], v[195:196]
	s_delay_alu instid0(VALU_DEP_1) | instskip(SKIP_1) | instid1(VALU_DEP_1)
	v_add_f64_e32 v[143:144], v[143:144], v[141:142]
	v_fma_f64 v[141:142], v[100:101], s[8:9], -v[197:198]
	v_add_f64_e32 v[141:142], v[141:142], v[118:119]
	v_mul_f64_e32 v[118:119], s[26:27], v[108:109]
	s_delay_alu instid0(VALU_DEP_1) | instskip(NEXT) | instid1(VALU_DEP_1)
	v_fma_f64 v[147:148], v[102:103], s[8:9], v[118:119]
	v_add_f64_e32 v[143:144], v[147:148], v[143:144]
	v_fma_f64 v[147:148], v[84:85], s[8:9], -v[171:172]
	s_delay_alu instid0(VALU_DEP_1) | instskip(SKIP_1) | instid1(VALU_DEP_1)
	v_add_f64_e32 v[120:121], v[147:148], v[120:121]
	v_fma_f64 v[147:148], v[86:87], s[8:9], v[199:200]
	v_add_f64_e32 v[145:146], v[147:148], v[145:146]
	v_fma_f64 v[147:148], v[92:93], s[20:21], -v[201:202]
	s_delay_alu instid0(VALU_DEP_1) | instskip(SKIP_1) | instid1(VALU_DEP_1)
	v_add_f64_e32 v[120:121], v[147:148], v[120:121]
	;; [unrolled: 5-line block ×5, first 2 shown]
	v_mul_f64_e32 v[120:121], s[46:47], v[108:109]
	v_fma_f64 v[149:150], v[102:103], s[16:17], v[120:121]
	s_delay_alu instid0(VALU_DEP_1) | instskip(SKIP_1) | instid1(VALU_DEP_1)
	v_add_f64_e32 v[147:148], v[149:150], v[147:148]
	v_fma_f64 v[149:150], v[84:85], s[18:19], -v[165:166]
	v_add_f64_e32 v[122:123], v[149:150], v[122:123]
	v_fma_f64 v[149:150], v[86:87], s[18:19], v[215:216]
	s_delay_alu instid0(VALU_DEP_1) | instskip(SKIP_1) | instid1(VALU_DEP_1)
	v_add_f64_e32 v[149:150], v[149:150], v[151:152]
	v_fma_f64 v[151:152], v[92:93], s[16:17], -v[217:218]
	v_add_f64_e32 v[122:123], v[151:152], v[122:123]
	;; [unrolled: 5-line block ×5, first 2 shown]
	v_mul_f64_e32 v[122:123], s[28:29], v[108:109]
	v_mul_f64_e32 v[108:109], s[40:41], v[108:109]
	s_delay_alu instid0(VALU_DEP_2) | instskip(NEXT) | instid1(VALU_DEP_1)
	v_fma_f64 v[157:158], v[102:103], s[14:15], v[122:123]
	v_add_f64_e32 v[151:152], v[157:158], v[151:152]
	v_fma_f64 v[157:158], v[84:85], s[20:21], -v[66:67]
	v_fma_f64 v[66:67], v[84:85], s[20:21], v[66:67]
	s_delay_alu instid0(VALU_DEP_2) | instskip(SKIP_2) | instid1(VALU_DEP_4)
	v_add_f64_e32 v[153:154], v[157:158], v[153:154]
	v_fma_f64 v[157:158], v[86:87], s[20:21], v[64:65]
	v_fma_f64 v[64:65], v[86:87], s[20:21], -v[64:65]
	v_add_f64_e32 v[52:53], v[66:67], v[52:53]
	v_fma_f64 v[66:67], v[102:103], s[18:19], -v[108:109]
	s_delay_alu instid0(VALU_DEP_4) | instskip(SKIP_3) | instid1(VALU_DEP_3)
	v_add_f64_e32 v[155:156], v[157:158], v[155:156]
	v_fma_f64 v[157:158], v[92:93], s[8:9], -v[70:71]
	v_add_f64_e32 v[54:55], v[64:65], v[54:55]
	v_fma_f64 v[64:65], v[92:93], s[8:9], v[70:71]
	v_add_f64_e32 v[153:154], v[157:158], v[153:154]
	v_fma_f64 v[157:158], v[94:95], s[8:9], v[68:69]
	s_delay_alu instid0(VALU_DEP_3) | instskip(SKIP_1) | instid1(VALU_DEP_3)
	v_add_f64_e32 v[52:53], v[64:65], v[52:53]
	v_fma_f64 v[64:65], v[94:95], s[8:9], -v[68:69]
	v_add_f64_e32 v[155:156], v[157:158], v[155:156]
	v_fma_f64 v[157:158], v[96:97], s[16:17], -v[82:83]
	s_delay_alu instid0(VALU_DEP_3) | instskip(SKIP_1) | instid1(VALU_DEP_3)
	v_add_f64_e32 v[54:55], v[64:65], v[54:55]
	v_fma_f64 v[64:65], v[96:97], s[16:17], v[82:83]
	v_add_f64_e32 v[153:154], v[157:158], v[153:154]
	v_fma_f64 v[157:158], v[98:99], s[16:17], v[80:81]
	s_delay_alu instid0(VALU_DEP_3) | instskip(SKIP_2) | instid1(VALU_DEP_4)
	v_add_f64_e32 v[52:53], v[64:65], v[52:53]
	v_fma_f64 v[64:65], v[98:99], s[16:17], -v[80:81]
	v_add_f64_e32 v[80:81], v[46:47], v[14:15]
	v_add_f64_e32 v[155:156], v[157:158], v[155:156]
	v_fma_f64 v[157:158], v[104:105], s[14:15], -v[90:91]
	s_delay_alu instid0(VALU_DEP_4) | instskip(SKIP_1) | instid1(VALU_DEP_3)
	v_add_f64_e32 v[54:55], v[64:65], v[54:55]
	v_fma_f64 v[64:65], v[104:105], s[14:15], v[90:91]
	v_add_f64_e32 v[153:154], v[157:158], v[153:154]
	v_fma_f64 v[157:158], v[106:107], s[14:15], v[88:89]
	s_delay_alu instid0(VALU_DEP_3) | instskip(SKIP_1) | instid1(VALU_DEP_3)
	v_add_f64_e32 v[52:53], v[64:65], v[52:53]
	v_fma_f64 v[64:65], v[106:107], s[14:15], -v[88:89]
	v_add_f64_e32 v[155:156], v[157:158], v[155:156]
	v_fma_f64 v[157:158], v[100:101], s[18:19], -v[110:111]
	s_delay_alu instid0(VALU_DEP_3) | instskip(SKIP_2) | instid1(VALU_DEP_4)
	v_add_f64_e32 v[54:55], v[64:65], v[54:55]
	v_fma_f64 v[64:65], v[100:101], s[18:19], v[110:111]
	v_add_f64_e64 v[110:111], v[30:31], -v[26:27]
	v_add_f64_e32 v[153:154], v[157:158], v[153:154]
	v_fma_f64 v[157:158], v[102:103], s[18:19], v[108:109]
	v_add_f64_e32 v[159:160], v[66:67], v[54:55]
	v_fma_f64 v[54:55], v[86:87], s[18:19], -v[215:216]
	v_fma_f64 v[66:67], v[102:103], s[14:15], -v[122:123]
	v_add_f64_e64 v[108:109], v[34:35], -v[22:23]
	v_mov_b32_e32 v215, v231
	v_add_f64_e32 v[155:156], v[157:158], v[155:156]
	v_add_f64_e32 v[157:158], v[64:65], v[52:53]
	v_fma_f64 v[52:53], v[84:85], s[18:19], v[165:166]
	v_fma_f64 v[64:65], v[92:93], s[16:17], v[217:218]
	v_add_f64_e32 v[54:55], v[54:55], v[163:164]
	s_delay_alu instid0(VALU_DEP_3) | instskip(SKIP_1) | instid1(VALU_DEP_2)
	v_add_f64_e32 v[52:53], v[52:53], v[112:113]
	v_add_f64_e32 v[112:113], v[36:37], v[0:1]
	;; [unrolled: 1-line block ×3, first 2 shown]
	v_fma_f64 v[64:65], v[94:95], s[16:17], -v[219:220]
	s_delay_alu instid0(VALU_DEP_1) | instskip(SKIP_1) | instid1(VALU_DEP_1)
	v_add_f64_e32 v[54:55], v[64:65], v[54:55]
	v_fma_f64 v[64:65], v[96:97], s[2:3], v[221:222]
	v_add_f64_e32 v[52:53], v[64:65], v[52:53]
	v_fma_f64 v[64:65], v[98:99], s[2:3], -v[223:224]
	s_delay_alu instid0(VALU_DEP_1) | instskip(SKIP_1) | instid1(VALU_DEP_1)
	v_add_f64_e32 v[54:55], v[64:65], v[54:55]
	v_fma_f64 v[64:65], v[104:105], s[20:21], v[225:226]
	v_add_f64_e32 v[52:53], v[64:65], v[52:53]
	v_fma_f64 v[64:65], v[106:107], s[20:21], -v[227:228]
	s_delay_alu instid0(VALU_DEP_1) | instskip(SKIP_1) | instid1(VALU_DEP_2)
	v_add_f64_e32 v[54:55], v[64:65], v[54:55]
	v_fma_f64 v[64:65], v[100:101], s[14:15], v[229:230]
	v_add_f64_e32 v[165:166], v[66:67], v[54:55]
	s_delay_alu instid0(VALU_DEP_2)
	v_add_f64_e32 v[163:164], v[64:65], v[52:53]
	v_fma_f64 v[52:53], v[84:85], s[8:9], v[171:172]
	v_fma_f64 v[54:55], v[86:87], s[8:9], -v[199:200]
	v_fma_f64 v[64:65], v[92:93], s[20:21], v[201:202]
	v_fma_f64 v[66:67], v[102:103], s[16:17], -v[120:121]
	v_add_f64_e64 v[120:121], v[36:37], -v[0:1]
	v_add_f64_e32 v[52:53], v[52:53], v[74:75]
	v_add_f64_e32 v[54:55], v[54:55], v[169:170]
	s_delay_alu instid0(VALU_DEP_3) | instskip(NEXT) | instid1(VALU_DEP_3)
	v_mul_f64_e32 v[122:123], s[22:23], v[120:121]
	v_add_f64_e32 v[52:53], v[64:65], v[52:53]
	v_fma_f64 v[64:65], v[94:95], s[20:21], -v[203:204]
	s_delay_alu instid0(VALU_DEP_1) | instskip(SKIP_1) | instid1(VALU_DEP_1)
	v_add_f64_e32 v[54:55], v[64:65], v[54:55]
	v_fma_f64 v[64:65], v[96:97], s[18:19], v[205:206]
	v_add_f64_e32 v[52:53], v[64:65], v[52:53]
	v_fma_f64 v[64:65], v[98:99], s[18:19], -v[207:208]
	s_delay_alu instid0(VALU_DEP_1) | instskip(SKIP_1) | instid1(VALU_DEP_1)
	v_add_f64_e32 v[54:55], v[64:65], v[54:55]
	v_fma_f64 v[64:65], v[104:105], s[2:3], v[209:210]
	v_add_f64_e32 v[52:53], v[64:65], v[52:53]
	v_fma_f64 v[64:65], v[106:107], s[2:3], -v[211:212]
	s_delay_alu instid0(VALU_DEP_1) | instskip(SKIP_2) | instid1(VALU_DEP_1)
	v_add_f64_e32 v[54:55], v[64:65], v[54:55]
	v_fma_f64 v[64:65], v[100:101], s[16:17], v[213:214]
	v_mov_b32_e32 v214, v161
	v_mul_lo_u16 v161, v214, 13
	s_delay_alu instid0(VALU_DEP_1)
	v_and_b32_e32 v161, 0xffff, v161
	v_add_f64_e32 v[171:172], v[66:67], v[54:55]
	v_add_f64_e32 v[169:170], v[64:65], v[52:53]
	v_fma_f64 v[52:53], v[84:85], s[2:3], v[76:77]
	v_fma_f64 v[54:55], v[86:87], s[2:3], -v[175:176]
	v_fma_f64 v[64:65], v[92:93], s[14:15], v[185:186]
	v_fma_f64 v[66:67], v[102:103], s[8:9], -v[118:119]
	v_add_f64_e32 v[118:119], v[38:39], v[2:3]
	v_add_f64_e32 v[52:53], v[52:53], v[72:73]
	;; [unrolled: 1-line block ×4, first 2 shown]
	s_delay_alu instid0(VALU_DEP_3) | instskip(SKIP_1) | instid1(VALU_DEP_1)
	v_add_f64_e32 v[52:53], v[64:65], v[52:53]
	v_fma_f64 v[64:65], v[94:95], s[14:15], -v[187:188]
	v_add_f64_e32 v[54:55], v[64:65], v[54:55]
	v_fma_f64 v[64:65], v[96:97], s[20:21], v[189:190]
	s_delay_alu instid0(VALU_DEP_1) | instskip(SKIP_1) | instid1(VALU_DEP_1)
	v_add_f64_e32 v[52:53], v[64:65], v[52:53]
	v_fma_f64 v[64:65], v[98:99], s[20:21], -v[191:192]
	v_add_f64_e32 v[54:55], v[64:65], v[54:55]
	v_fma_f64 v[64:65], v[104:105], s[16:17], v[193:194]
	s_delay_alu instid0(VALU_DEP_1) | instskip(SKIP_1) | instid1(VALU_DEP_1)
	v_add_f64_e32 v[52:53], v[64:65], v[52:53]
	v_fma_f64 v[64:65], v[106:107], s[16:17], -v[195:196]
	v_add_f64_e32 v[54:55], v[64:65], v[54:55]
	v_fma_f64 v[64:65], v[100:101], s[8:9], v[197:198]
	s_delay_alu instid0(VALU_DEP_2) | instskip(NEXT) | instid1(VALU_DEP_2)
	v_add_f64_e32 v[175:176], v[66:67], v[54:55]
	v_add_f64_e32 v[173:174], v[64:65], v[52:53]
	v_fma_f64 v[52:53], v[84:85], s[14:15], v[56:57]
	v_fma_f64 v[54:55], v[86:87], s[14:15], -v[62:63]
	v_fma_f64 v[56:57], v[92:93], s[2:3], v[78:79]
	v_fma_f64 v[62:63], v[94:95], s[2:3], -v[114:115]
	v_fma_f64 v[64:65], v[98:99], s[8:9], -v[177:178]
	v_add_f64_e64 v[92:93], v[40:41], -v[4:5]
	v_add_f64_e64 v[94:95], v[48:49], -v[8:9]
	;; [unrolled: 1-line block ×3, first 2 shown]
	v_add_f64_e32 v[52:53], v[52:53], v[58:59]
	v_add_f64_e32 v[54:55], v[54:55], v[167:168]
	v_fma_f64 v[58:59], v[96:97], s[8:9], v[116:117]
	v_add_f64_e64 v[116:117], v[38:39], -v[2:3]
	v_add_f64_e64 v[96:97], v[44:45], -v[12:13]
	v_mul_f64_e32 v[74:75], s[24:25], v[94:95]
	v_mul_f64_e32 v[86:87], s[26:27], v[98:99]
	v_add_f64_e32 v[52:53], v[56:57], v[52:53]
	v_add_f64_e32 v[54:55], v[62:63], v[54:55]
	v_fma_f64 v[56:57], v[104:105], s[18:19], v[179:180]
	v_mul_f64_e32 v[114:115], s[22:23], v[116:117]
	v_add_f64_e64 v[104:105], v[50:51], -v[10:11]
	v_mul_f64_e32 v[82:83], s[28:29], v[96:97]
	v_add_f64_e32 v[52:53], v[58:59], v[52:53]
	v_add_f64_e32 v[54:55], v[64:65], v[54:55]
	v_fma_f64 v[58:59], v[106:107], s[18:19], -v[181:182]
	v_add_f64_e64 v[106:107], v[46:47], -v[14:15]
	s_delay_alu instid0(VALU_DEP_4) | instskip(SKIP_1) | instid1(VALU_DEP_4)
	v_add_f64_e32 v[52:53], v[56:57], v[52:53]
	v_fma_f64 v[56:57], v[100:101], s[20:21], v[183:184]
	v_add_f64_e32 v[54:55], v[58:59], v[54:55]
	v_fma_f64 v[58:59], v[102:103], s[20:21], -v[60:61]
	v_add_f64_e64 v[102:103], v[42:43], -v[6:7]
	v_add_f64_e64 v[100:101], v[28:29], -v[24:25]
	v_add_f64_e32 v[177:178], v[56:57], v[52:53]
	v_fma_f64 v[52:53], v[112:113], s[20:21], v[114:115]
	v_add_f64_e32 v[179:180], v[58:59], v[54:55]
	v_mul_f64_e32 v[54:55], s[30:31], v[102:103]
	s_delay_alu instid0(VALU_DEP_3) | instskip(SKIP_1) | instid1(VALU_DEP_1)
	v_add_f64_e32 v[56:57], v[16:17], v[52:53]
	v_add_f64_e32 v[52:53], v[40:41], v[4:5]
	v_fma_f64 v[58:59], v[52:53], s[16:17], v[54:55]
	s_delay_alu instid0(VALU_DEP_1) | instskip(SKIP_2) | instid1(VALU_DEP_2)
	v_add_f64_e32 v[64:65], v[58:59], v[56:57]
	v_fma_f64 v[56:57], v[118:119], s[20:21], -v[122:123]
	v_mul_f64_e32 v[58:59], s[30:31], v[92:93]
	v_add_f64_e32 v[60:61], v[18:19], v[56:57]
	v_add_f64_e32 v[56:57], v[42:43], v[6:7]
	s_delay_alu instid0(VALU_DEP_1) | instskip(NEXT) | instid1(VALU_DEP_1)
	v_fma_f64 v[62:63], v[56:57], s[16:17], -v[58:59]
	v_add_f64_e32 v[66:67], v[62:63], v[60:61]
	v_add_f64_e32 v[60:61], v[48:49], v[8:9]
	v_mul_f64_e32 v[62:63], s[24:25], v[104:105]
	s_delay_alu instid0(VALU_DEP_1) | instskip(NEXT) | instid1(VALU_DEP_1)
	v_fma_f64 v[68:69], v[60:61], s[18:19], v[62:63]
	v_add_f64_e32 v[68:69], v[68:69], v[64:65]
	v_fma_f64 v[64:65], v[72:73], s[18:19], -v[74:75]
	s_delay_alu instid0(VALU_DEP_1) | instskip(SKIP_2) | instid1(VALU_DEP_1)
	v_add_f64_e32 v[70:71], v[64:65], v[66:67]
	v_add_f64_e32 v[64:65], v[44:45], v[12:13]
	v_mul_f64_e32 v[66:67], s[28:29], v[106:107]
	v_fma_f64 v[76:77], v[64:65], s[14:15], v[66:67]
	s_delay_alu instid0(VALU_DEP_1) | instskip(SKIP_1) | instid1(VALU_DEP_1)
	v_add_f64_e32 v[76:77], v[76:77], v[68:69]
	v_fma_f64 v[68:69], v[80:81], s[14:15], -v[82:83]
	v_add_f64_e32 v[78:79], v[68:69], v[70:71]
	v_add_f64_e32 v[68:69], v[32:33], v[20:21]
	v_mul_f64_e32 v[70:71], s[26:27], v[108:109]
	s_delay_alu instid0(VALU_DEP_1) | instskip(NEXT) | instid1(VALU_DEP_1)
	v_fma_f64 v[84:85], v[68:69], s[8:9], v[70:71]
	v_add_f64_e32 v[88:89], v[84:85], v[76:77]
	v_add_f64_e32 v[84:85], v[34:35], v[22:23]
	s_delay_alu instid0(VALU_DEP_1) | instskip(NEXT) | instid1(VALU_DEP_1)
	v_fma_f64 v[76:77], v[84:85], s[8:9], -v[86:87]
	v_add_f64_e32 v[167:168], v[76:77], v[78:79]
	v_add_f64_e32 v[76:77], v[28:29], v[24:25]
	v_mul_f64_e32 v[78:79], s[34:35], v[110:111]
	s_delay_alu instid0(VALU_DEP_1) | instskip(NEXT) | instid1(VALU_DEP_1)
	v_fma_f64 v[90:91], v[76:77], s[2:3], v[78:79]
	v_add_f64_e32 v[183:184], v[90:91], v[88:89]
	v_add_f64_e32 v[88:89], v[30:31], v[26:27]
	v_mul_f64_e32 v[90:91], s[34:35], v[100:101]
	s_delay_alu instid0(VALU_DEP_1) | instskip(NEXT) | instid1(VALU_DEP_1)
	v_fma_f64 v[181:182], v[88:89], s[2:3], -v[90:91]
	v_add_f64_e32 v[185:186], v[181:182], v[167:168]
	v_lshl_add_u32 v168, v161, 4, v215
	scratch_store_b128 off, v[183:186], off offset:8 ; 16-byte Folded Spill
	global_wb scope:SCOPE_SE
	s_wait_storecnt 0x0
	s_wait_kmcnt 0x0
	s_barrier_signal -1
	s_barrier_wait -1
	global_inv scope:SCOPE_SE
	ds_store_b128 v168, v[125:128]
	ds_store_b128 v168, v[129:132] offset:16
	ds_store_b128 v168, v[137:140] offset:32
	;; [unrolled: 1-line block ×12, first 2 shown]
	v_add_co_u32 v125, s33, 0x41, v214
	s_delay_alu instid0(VALU_DEP_1) | instskip(NEXT) | instid1(VALU_DEP_2)
	v_add_co_ci_u32_e64 v126, null, 0, 0, s33
	v_mul_u32_u24_e32 v126, 13, v125
	scratch_store_b32 off, v126, off offset:892 ; 4-byte Folded Spill
	s_and_saveexec_b32 s33, vcc_lo
	s_cbranch_execz .LBB0_7
; %bb.6:
	v_add_f64_e32 v[36:37], v[16:17], v[36:37]
	v_add_f64_e32 v[38:39], v[18:19], v[38:39]
	v_mul_f64_e32 v[144:145], s[18:19], v[88:89]
	v_mul_f64_e32 v[146:147], s[40:41], v[110:111]
	;; [unrolled: 1-line block ×16, first 2 shown]
	v_add_f64_e32 v[36:37], v[36:37], v[40:41]
	v_add_f64_e32 v[38:39], v[38:39], v[42:43]
	v_mul_f64_e32 v[40:41], s[18:19], v[118:119]
	s_delay_alu instid0(VALU_DEP_3) | instskip(NEXT) | instid1(VALU_DEP_3)
	v_add_f64_e32 v[36:37], v[36:37], v[48:49]
	v_add_f64_e32 v[38:39], v[38:39], v[50:51]
	v_mul_f64_e32 v[48:49], s[20:21], v[118:119]
	s_delay_alu instid0(VALU_DEP_4)
	v_fma_f64 v[42:43], v[120:121], s[40:41], v[40:41]
	v_fma_f64 v[40:41], v[120:121], s[24:25], v[40:41]
	v_mul_f64_e32 v[50:51], s[34:35], v[116:117]
	v_add_f64_e32 v[36:37], v[36:37], v[44:45]
	v_add_f64_e32 v[38:39], v[38:39], v[46:47]
	v_mul_f64_e32 v[44:45], s[16:17], v[118:119]
	v_add_f64_e32 v[48:49], v[122:123], v[48:49]
	v_mul_f64_e32 v[122:123], s[24:25], v[116:117]
	v_fma_f64 v[126:127], v[112:113], s[2:3], v[50:51]
	v_fma_f64 v[50:51], v[112:113], s[2:3], -v[50:51]
	v_add_f64_e32 v[138:139], v[18:19], v[42:43]
	v_add_f64_e32 v[32:33], v[36:37], v[32:33]
	;; [unrolled: 1-line block ×3, first 2 shown]
	v_mul_f64_e32 v[36:37], s[14:15], v[118:119]
	v_fma_f64 v[46:47], v[120:121], s[46:47], v[44:45]
	v_fma_f64 v[44:45], v[120:121], s[30:31], v[44:45]
	;; [unrolled: 1-line block ×3, first 2 shown]
	v_fma_f64 v[122:123], v[112:113], s[18:19], -v[122:123]
	v_add_f64_e32 v[50:51], v[16:17], v[50:51]
	v_add_f64_e32 v[48:49], v[18:19], v[48:49]
	;; [unrolled: 1-line block ×4, first 2 shown]
	v_mul_f64_e32 v[32:33], s[8:9], v[118:119]
	v_fma_f64 v[38:39], v[120:121], s[38:39], v[36:37]
	v_fma_f64 v[36:37], v[120:121], s[28:29], v[36:37]
	v_add_f64_e32 v[132:133], v[16:17], v[132:133]
	v_add_f64_e32 v[24:25], v[28:29], v[24:25]
	v_mul_f64_e32 v[28:29], s[2:3], v[118:119]
	v_add_f64_e32 v[26:27], v[30:31], v[26:27]
	v_fma_f64 v[34:35], v[120:121], s[36:37], v[32:33]
	v_fma_f64 v[32:33], v[120:121], s[26:27], v[32:33]
	v_mul_f64_e32 v[118:119], s[26:27], v[116:117]
	v_add_f64_e32 v[136:137], v[18:19], v[36:37]
	v_add_f64_e32 v[36:37], v[18:19], v[40:41]
	;; [unrolled: 1-line block ×4, first 2 shown]
	v_fma_f64 v[30:31], v[120:121], s[42:43], v[28:29]
	v_fma_f64 v[28:29], v[120:121], s[34:35], v[28:29]
	v_mul_f64_e32 v[120:121], s[28:29], v[116:117]
	v_mul_f64_e32 v[116:117], s[30:31], v[116:117]
	v_fma_f64 v[128:129], v[112:113], s[8:9], v[118:119]
	v_fma_f64 v[118:119], v[112:113], s[8:9], -v[118:119]
	v_mul_f64_e32 v[20:21], s[20:21], v[56:57]
	v_mul_f64_e32 v[24:25], s[8:9], v[72:73]
	v_add_f64_e32 v[34:35], v[18:19], v[34:35]
	v_add_f64_e32 v[32:33], v[18:19], v[32:33]
	;; [unrolled: 1-line block ×4, first 2 shown]
	v_fma_f64 v[130:131], v[112:113], s[14:15], v[120:121]
	v_fma_f64 v[120:121], v[112:113], s[14:15], -v[120:121]
	v_fma_f64 v[134:135], v[112:113], s[16:17], v[116:117]
	v_fma_f64 v[116:117], v[112:113], s[16:17], -v[116:117]
	v_mul_f64_e32 v[112:113], s[20:21], v[112:113]
	v_add_f64_e32 v[118:119], v[16:17], v[118:119]
	v_add_f64_e32 v[130:131], v[16:17], v[130:131]
	v_add_f64_e32 v[120:121], v[16:17], v[120:121]
	v_add_f64_e32 v[134:135], v[16:17], v[134:135]
	v_add_f64_e32 v[42:43], v[16:17], v[116:117]
	v_add_f64_e64 v[112:113], v[112:113], -v[114:115]
	v_add_f64_e32 v[114:115], v[16:17], v[126:127]
	v_add_f64_e32 v[126:127], v[16:17], v[128:129]
	;; [unrolled: 1-line block ×5, first 2 shown]
	v_mul_f64_e32 v[22:23], s[44:45], v[102:103]
	v_fma_f64 v[26:27], v[94:95], s[36:37], v[24:25]
	v_add_f64_e32 v[122:123], v[18:19], v[46:47]
	v_fma_f64 v[24:25], v[94:95], s[26:27], v[24:25]
	v_add_f64_e32 v[112:113], v[16:17], v[112:113]
	v_fma_f64 v[16:17], v[92:93], s[22:23], v[20:21]
	v_fma_f64 v[20:21], v[92:93], s[44:45], v[20:21]
	;; [unrolled: 1-line block ×3, first 2 shown]
	v_fma_f64 v[22:23], v[52:53], s[20:21], -v[22:23]
	s_delay_alu instid0(VALU_DEP_4) | instskip(NEXT) | instid1(VALU_DEP_4)
	v_add_f64_e32 v[16:17], v[16:17], v[30:31]
	v_add_f64_e32 v[20:21], v[20:21], v[28:29]
	v_mul_f64_e32 v[28:29], s[18:19], v[56:57]
	v_add_f64_e32 v[18:19], v[18:19], v[114:115]
	v_add_f64_e32 v[22:23], v[22:23], v[50:51]
	v_add_f64_e32 v[16:17], v[26:27], v[16:17]
	v_mul_f64_e32 v[26:27], s[26:27], v[104:105]
	v_add_f64_e32 v[20:21], v[24:25], v[20:21]
	s_delay_alu instid0(VALU_DEP_2) | instskip(SKIP_2) | instid1(VALU_DEP_3)
	v_fma_f64 v[30:31], v[60:61], s[8:9], v[26:27]
	v_fma_f64 v[24:25], v[60:61], s[8:9], -v[26:27]
	v_fma_f64 v[26:27], v[76:77], s[18:19], -v[146:147]
	v_add_f64_e32 v[18:19], v[30:31], v[18:19]
	v_mul_f64_e32 v[30:31], s[16:17], v[80:81]
	s_delay_alu instid0(VALU_DEP_4) | instskip(NEXT) | instid1(VALU_DEP_2)
	v_add_f64_e32 v[22:23], v[24:25], v[22:23]
	v_fma_f64 v[44:45], v[96:97], s[30:31], v[30:31]
	v_fma_f64 v[24:25], v[96:97], s[46:47], v[30:31]
	v_mul_f64_e32 v[30:31], s[40:41], v[102:103]
	s_delay_alu instid0(VALU_DEP_3) | instskip(SKIP_1) | instid1(VALU_DEP_4)
	v_add_f64_e32 v[16:17], v[44:45], v[16:17]
	v_mul_f64_e32 v[44:45], s[46:47], v[106:107]
	v_add_f64_e32 v[20:21], v[24:25], v[20:21]
	s_delay_alu instid0(VALU_DEP_2) | instskip(SKIP_1) | instid1(VALU_DEP_2)
	v_fma_f64 v[46:47], v[64:65], s[16:17], v[44:45]
	v_fma_f64 v[24:25], v[64:65], s[16:17], -v[44:45]
	v_add_f64_e32 v[18:19], v[46:47], v[18:19]
	v_mul_f64_e32 v[46:47], s[14:15], v[84:85]
	s_delay_alu instid0(VALU_DEP_3) | instskip(NEXT) | instid1(VALU_DEP_2)
	v_add_f64_e32 v[22:23], v[24:25], v[22:23]
	v_fma_f64 v[114:115], v[98:99], s[38:39], v[46:47]
	v_fma_f64 v[24:25], v[98:99], s[28:29], v[46:47]
	s_delay_alu instid0(VALU_DEP_2) | instskip(SKIP_1) | instid1(VALU_DEP_3)
	v_add_f64_e32 v[16:17], v[114:115], v[16:17]
	v_mul_f64_e32 v[114:115], s[28:29], v[108:109]
	v_add_f64_e32 v[20:21], v[24:25], v[20:21]
	s_delay_alu instid0(VALU_DEP_2) | instskip(SKIP_1) | instid1(VALU_DEP_2)
	v_fma_f64 v[24:25], v[68:69], s[14:15], -v[114:115]
	v_fma_f64 v[142:143], v[68:69], s[14:15], v[114:115]
	v_add_f64_e32 v[24:25], v[24:25], v[22:23]
	v_fma_f64 v[22:23], v[100:101], s[40:41], v[144:145]
	s_delay_alu instid0(VALU_DEP_3) | instskip(SKIP_2) | instid1(VALU_DEP_4)
	v_add_f64_e32 v[142:143], v[142:143], v[18:19]
	v_fma_f64 v[18:19], v[100:101], s[24:25], v[144:145]
	v_mul_f64_e32 v[144:145], s[14:15], v[88:89]
	v_add_f64_e32 v[22:23], v[22:23], v[20:21]
	v_add_f64_e32 v[20:21], v[26:27], v[24:25]
	v_fma_f64 v[24:25], v[92:93], s[24:25], v[28:29]
	v_fma_f64 v[26:27], v[52:53], s[18:19], v[30:31]
	;; [unrolled: 1-line block ×3, first 2 shown]
	v_fma_f64 v[30:31], v[52:53], s[18:19], -v[30:31]
	v_add_f64_e32 v[18:19], v[18:19], v[16:17]
	v_fma_f64 v[16:17], v[76:77], s[18:19], v[146:147]
	v_mul_f64_e32 v[146:147], s[28:29], v[110:111]
	v_mul_f64_e32 v[110:111], s[46:47], v[110:111]
	v_add_f64_e32 v[24:25], v[24:25], v[34:35]
	v_mul_f64_e32 v[34:35], s[16:17], v[72:73]
	v_add_f64_e32 v[26:27], v[26:27], v[126:127]
	v_add_f64_e32 v[28:29], v[28:29], v[32:33]
	;; [unrolled: 1-line block ×4, first 2 shown]
	v_mul_f64_e32 v[118:119], s[2:3], v[72:73]
	v_fma_f64 v[44:45], v[94:95], s[46:47], v[34:35]
	v_fma_f64 v[32:33], v[94:95], s[30:31], v[34:35]
	v_fma_f64 v[34:35], v[76:77], s[14:15], -v[146:147]
	s_delay_alu instid0(VALU_DEP_3) | instskip(SKIP_1) | instid1(VALU_DEP_4)
	v_add_f64_e32 v[24:25], v[44:45], v[24:25]
	v_mul_f64_e32 v[44:45], s[30:31], v[104:105]
	v_add_f64_e32 v[28:29], v[32:33], v[28:29]
	s_delay_alu instid0(VALU_DEP_2) | instskip(SKIP_2) | instid1(VALU_DEP_3)
	v_fma_f64 v[46:47], v[60:61], s[16:17], v[44:45]
	v_fma_f64 v[32:33], v[60:61], s[16:17], -v[44:45]
	v_mul_f64_e32 v[44:45], s[8:9], v[56:57]
	v_add_f64_e32 v[26:27], v[46:47], v[26:27]
	v_mul_f64_e32 v[46:47], s[2:3], v[80:81]
	s_delay_alu instid0(VALU_DEP_4) | instskip(NEXT) | instid1(VALU_DEP_2)
	v_add_f64_e32 v[30:31], v[32:33], v[30:31]
	v_fma_f64 v[50:51], v[96:97], s[34:35], v[46:47]
	v_fma_f64 v[32:33], v[96:97], s[42:43], v[46:47]
	v_mul_f64_e32 v[46:47], s[36:37], v[102:103]
	s_delay_alu instid0(VALU_DEP_3) | instskip(SKIP_1) | instid1(VALU_DEP_4)
	v_add_f64_e32 v[24:25], v[50:51], v[24:25]
	v_mul_f64_e32 v[50:51], s[42:43], v[106:107]
	v_add_f64_e32 v[28:29], v[32:33], v[28:29]
	s_delay_alu instid0(VALU_DEP_2) | instskip(SKIP_2) | instid1(VALU_DEP_3)
	v_fma_f64 v[114:115], v[64:65], s[2:3], v[50:51]
	v_fma_f64 v[32:33], v[64:65], s[2:3], -v[50:51]
	v_mul_f64_e32 v[50:51], s[14:15], v[56:57]
	v_add_f64_e32 v[26:27], v[114:115], v[26:27]
	v_mul_f64_e32 v[114:115], s[20:21], v[84:85]
	s_delay_alu instid0(VALU_DEP_4) | instskip(NEXT) | instid1(VALU_DEP_2)
	v_add_f64_e32 v[30:31], v[32:33], v[30:31]
	v_fma_f64 v[126:127], v[98:99], s[22:23], v[114:115]
	v_fma_f64 v[32:33], v[98:99], s[44:45], v[114:115]
	v_mul_f64_e32 v[114:115], s[28:29], v[102:103]
	v_mul_f64_e32 v[102:103], s[20:21], v[72:73]
	s_delay_alu instid0(VALU_DEP_4) | instskip(SKIP_3) | instid1(VALU_DEP_3)
	v_add_f64_e32 v[24:25], v[126:127], v[24:25]
	v_mul_f64_e32 v[126:127], s[44:45], v[108:109]
	v_add_f64_e32 v[28:29], v[32:33], v[28:29]
	v_mul_f64_e32 v[108:109], s[42:43], v[108:109]
	v_fma_f64 v[32:33], v[68:69], s[20:21], -v[126:127]
	v_fma_f64 v[142:143], v[68:69], s[20:21], v[126:127]
	v_mul_f64_e32 v[126:127], s[34:35], v[104:105]
	v_mul_f64_e32 v[104:105], s[44:45], v[104:105]
	s_delay_alu instid0(VALU_DEP_4)
	v_add_f64_e32 v[32:33], v[32:33], v[30:31]
	v_fma_f64 v[30:31], v[100:101], s[28:29], v[144:145]
	v_add_f64_e32 v[142:143], v[142:143], v[26:27]
	v_fma_f64 v[26:27], v[100:101], s[38:39], v[144:145]
	v_mul_f64_e32 v[144:145], s[36:37], v[106:107]
	v_mul_f64_e32 v[106:107], s[24:25], v[106:107]
	v_add_f64_e32 v[30:31], v[30:31], v[28:29]
	v_add_f64_e32 v[28:29], v[34:35], v[32:33]
	v_fma_f64 v[32:33], v[92:93], s[28:29], v[50:51]
	v_add_f64_e32 v[26:27], v[26:27], v[24:25]
	v_fma_f64 v[24:25], v[76:77], s[14:15], v[146:147]
	v_fma_f64 v[34:35], v[52:53], s[14:15], -v[114:115]
	v_mul_f64_e32 v[146:147], s[18:19], v[84:85]
	v_add_f64_e32 v[32:33], v[32:33], v[40:41]
	v_fma_f64 v[40:41], v[94:95], s[34:35], v[118:119]
	v_add_f64_e32 v[24:25], v[24:25], v[142:143]
	v_add_f64_e32 v[34:35], v[34:35], v[42:43]
	v_mul_f64_e32 v[142:143], s[8:9], v[80:81]
	v_fma_f64 v[42:43], v[52:53], s[8:9], -v[46:47]
	v_fma_f64 v[46:47], v[52:53], s[8:9], v[46:47]
	v_add_f64_e32 v[32:33], v[40:41], v[32:33]
	v_fma_f64 v[40:41], v[60:61], s[2:3], -v[126:127]
	s_delay_alu instid0(VALU_DEP_4)
	v_add_f64_e32 v[42:43], v[42:43], v[120:121]
	v_fma_f64 v[120:121], v[94:95], s[44:45], v[102:103]
	v_fma_f64 v[102:103], v[94:95], s[22:23], v[102:103]
	v_add_f64_e32 v[46:47], v[46:47], v[130:131]
	v_add_f64_e32 v[34:35], v[40:41], v[34:35]
	v_fma_f64 v[40:41], v[96:97], s[36:37], v[142:143]
	s_delay_alu instid0(VALU_DEP_1) | instskip(SKIP_1) | instid1(VALU_DEP_1)
	v_add_f64_e32 v[32:33], v[40:41], v[32:33]
	v_fma_f64 v[40:41], v[64:65], s[8:9], -v[144:145]
	v_add_f64_e32 v[34:35], v[40:41], v[34:35]
	v_fma_f64 v[40:41], v[98:99], s[40:41], v[146:147]
	s_delay_alu instid0(VALU_DEP_1) | instskip(SKIP_1) | instid1(VALU_DEP_1)
	v_add_f64_e32 v[32:33], v[40:41], v[32:33]
	v_fma_f64 v[40:41], v[68:69], s[18:19], -v[148:149]
	;; [unrolled: 5-line block ×8, first 2 shown]
	v_add_f64_e32 v[36:37], v[36:37], v[40:41]
	v_fma_f64 v[40:41], v[92:93], s[36:37], v[44:45]
	v_fma_f64 v[44:45], v[92:93], s[26:27], v[44:45]
	s_delay_alu instid0(VALU_DEP_2) | instskip(NEXT) | instid1(VALU_DEP_2)
	v_add_f64_e32 v[40:41], v[40:41], v[136:137]
	v_add_f64_e32 v[44:45], v[44:45], v[128:129]
	s_delay_alu instid0(VALU_DEP_2) | instskip(SKIP_1) | instid1(VALU_DEP_3)
	v_add_f64_e32 v[40:41], v[120:121], v[40:41]
	v_fma_f64 v[120:121], v[60:61], s[20:21], -v[104:105]
	v_add_f64_e32 v[44:45], v[102:103], v[44:45]
	v_fma_f64 v[102:103], v[60:61], s[20:21], v[104:105]
	v_fma_f64 v[104:105], v[76:77], s[16:17], v[110:111]
	s_delay_alu instid0(VALU_DEP_4) | instskip(SKIP_1) | instid1(VALU_DEP_4)
	v_add_f64_e32 v[42:43], v[120:121], v[42:43]
	v_mul_f64_e32 v[120:121], s[18:19], v[80:81]
	v_add_f64_e32 v[46:47], v[102:103], v[46:47]
	s_delay_alu instid0(VALU_DEP_2) | instskip(SKIP_1) | instid1(VALU_DEP_2)
	v_fma_f64 v[136:137], v[96:97], s[24:25], v[120:121]
	v_fma_f64 v[102:103], v[96:97], s[40:41], v[120:121]
	v_add_f64_e32 v[40:41], v[136:137], v[40:41]
	v_fma_f64 v[136:137], v[64:65], s[18:19], -v[106:107]
	s_delay_alu instid0(VALU_DEP_3) | instskip(SKIP_2) | instid1(VALU_DEP_4)
	v_add_f64_e32 v[44:45], v[102:103], v[44:45]
	v_fma_f64 v[102:103], v[64:65], s[18:19], v[106:107]
	v_fma_f64 v[106:107], v[94:95], s[28:29], v[158:159]
	v_add_f64_e32 v[42:43], v[136:137], v[42:43]
	v_mul_f64_e32 v[136:137], s[2:3], v[84:85]
	s_delay_alu instid0(VALU_DEP_4) | instskip(NEXT) | instid1(VALU_DEP_2)
	v_add_f64_e32 v[46:47], v[102:103], v[46:47]
	v_fma_f64 v[102:103], v[98:99], s[34:35], v[136:137]
	v_fma_f64 v[177:178], v[98:99], s[42:43], v[136:137]
	s_delay_alu instid0(VALU_DEP_2) | instskip(SKIP_1) | instid1(VALU_DEP_3)
	v_add_f64_e32 v[44:45], v[102:103], v[44:45]
	v_fma_f64 v[102:103], v[68:69], s[2:3], v[108:109]
	v_add_f64_e32 v[40:41], v[177:178], v[40:41]
	v_fma_f64 v[177:178], v[68:69], s[2:3], -v[108:109]
	v_fma_f64 v[108:109], v[76:77], s[8:9], v[175:176]
	s_delay_alu instid0(VALU_DEP_4) | instskip(SKIP_1) | instid1(VALU_DEP_4)
	v_add_f64_e32 v[102:103], v[102:103], v[46:47]
	v_fma_f64 v[46:47], v[100:101], s[30:31], v[179:180]
	v_add_f64_e32 v[177:178], v[177:178], v[42:43]
	v_fma_f64 v[42:43], v[100:101], s[46:47], v[179:180]
	s_delay_alu instid0(VALU_DEP_3)
	v_add_f64_e32 v[46:47], v[46:47], v[44:45]
	v_add_f64_e32 v[44:45], v[104:105], v[102:103]
	;; [unrolled: 1-line block ×3, first 2 shown]
	v_fma_f64 v[12:13], v[92:93], s[42:43], v[154:155]
	v_add_f64_e32 v[102:103], v[116:117], v[14:15]
	v_fma_f64 v[14:15], v[52:53], s[2:3], v[156:157]
	v_add_f64_e32 v[42:43], v[42:43], v[40:41]
	v_fma_f64 v[40:41], v[76:77], s[16:17], -v[110:111]
	v_add_f64_e32 v[104:105], v[104:105], v[8:9]
	v_add_f64_e32 v[12:13], v[12:13], v[138:139]
	v_fma_f64 v[8:9], v[92:93], s[38:39], v[50:51]
	v_add_f64_e32 v[14:15], v[14:15], v[132:133]
	v_add_f64_e32 v[102:103], v[102:103], v[10:11]
	v_fma_f64 v[10:11], v[94:95], s[42:43], v[118:119]
	v_fma_f64 v[50:51], v[96:97], s[26:27], v[142:143]
	;; [unrolled: 1-line block ×4, first 2 shown]
	v_add_f64_e32 v[40:41], v[40:41], v[177:178]
	v_add_f64_e32 v[12:13], v[106:107], v[12:13]
	v_fma_f64 v[106:107], v[60:61], s[14:15], v[160:161]
	v_add_f64_e32 v[8:9], v[8:9], v[122:123]
	s_delay_alu instid0(VALU_DEP_2) | instskip(SKIP_2) | instid1(VALU_DEP_4)
	v_add_f64_e32 v[14:15], v[106:107], v[14:15]
	v_fma_f64 v[106:107], v[96:97], s[22:23], v[163:164]
	v_fma_f64 v[96:97], v[52:53], s[14:15], v[114:115]
	v_add_f64_e32 v[8:9], v[10:11], v[8:9]
	v_fma_f64 v[10:11], v[60:61], s[2:3], v[126:127]
	v_mul_f64_e32 v[52:53], s[16:17], v[52:53]
	v_add_f64_e32 v[12:13], v[106:107], v[12:13]
	v_add_f64_e32 v[96:97], v[96:97], v[134:135]
	;; [unrolled: 1-line block ×3, first 2 shown]
	v_fma_f64 v[50:51], v[64:65], s[8:9], v[144:145]
	v_add_f64_e64 v[52:53], v[52:53], -v[54:55]
	v_fma_f64 v[106:107], v[64:65], s[20:21], v[165:166]
	v_mul_f64_e32 v[54:55], s[14:15], v[80:81]
	v_add_f64_e32 v[10:11], v[10:11], v[96:97]
	v_add_f64_e32 v[8:9], v[92:93], v[8:9]
	v_fma_f64 v[92:93], v[76:77], s[20:21], v[152:153]
	v_add_f64_e32 v[14:15], v[106:107], v[14:15]
	v_fma_f64 v[106:107], v[98:99], s[46:47], v[169:170]
	v_add_f64_e32 v[54:55], v[82:83], v[54:55]
	v_add_f64_e32 v[10:11], v[50:51], v[10:11]
	v_fma_f64 v[50:51], v[68:69], s[18:19], v[148:149]
	s_delay_alu instid0(VALU_DEP_4) | instskip(SKIP_1) | instid1(VALU_DEP_3)
	v_add_f64_e32 v[12:13], v[106:107], v[12:13]
	v_fma_f64 v[106:107], v[68:69], s[16:17], v[171:172]
	v_add_f64_e32 v[50:51], v[50:51], v[10:11]
	v_add_f64_e32 v[10:11], v[94:95], v[8:9]
	s_delay_alu instid0(VALU_DEP_3) | instskip(SKIP_1) | instid1(VALU_DEP_4)
	v_add_f64_e32 v[106:107], v[106:107], v[14:15]
	v_fma_f64 v[14:15], v[100:101], s[36:37], v[173:174]
	v_add_f64_e32 v[8:9], v[92:93], v[50:51]
	v_add_f64_e32 v[50:51], v[102:103], v[6:7]
	v_mul_f64_e32 v[6:7], s[16:17], v[56:57]
	v_add_f64_e32 v[92:93], v[104:105], v[4:5]
	v_mul_f64_e32 v[4:5], s[18:19], v[72:73]
	v_mul_f64_e32 v[56:57], s[18:19], v[60:61]
	;; [unrolled: 1-line block ×3, first 2 shown]
	v_add_f64_e32 v[14:15], v[14:15], v[12:13]
	v_add_f64_e32 v[12:13], v[108:109], v[106:107]
	;; [unrolled: 1-line block ×4, first 2 shown]
	v_mul_f64_e32 v[58:59], s[14:15], v[64:65]
	v_add_f64_e32 v[4:5], v[74:75], v[4:5]
	v_add_f64_e64 v[56:57], v[56:57], -v[62:63]
	v_add_f64_e32 v[60:61], v[86:87], v[60:61]
	v_add_f64_e32 v[0:1], v[92:93], v[0:1]
	;; [unrolled: 1-line block ×4, first 2 shown]
	v_add_f64_e64 v[58:59], v[58:59], -v[66:67]
	v_mul_f64_e32 v[52:53], s[8:9], v[68:69]
	s_delay_alu instid0(VALU_DEP_4) | instskip(NEXT) | instid1(VALU_DEP_4)
	v_add_f64_e32 v[4:5], v[4:5], v[6:7]
	v_add_f64_e32 v[6:7], v[56:57], v[48:49]
	v_mul_f64_e32 v[48:49], s[2:3], v[88:89]
	s_delay_alu instid0(VALU_DEP_4) | instskip(NEXT) | instid1(VALU_DEP_4)
	v_add_f64_e64 v[52:53], v[52:53], -v[70:71]
	v_add_f64_e32 v[4:5], v[54:55], v[4:5]
	s_delay_alu instid0(VALU_DEP_4) | instskip(SKIP_2) | instid1(VALU_DEP_4)
	v_add_f64_e32 v[6:7], v[58:59], v[6:7]
	v_mul_f64_e32 v[54:55], s[2:3], v[76:77]
	v_add_f64_e32 v[48:49], v[90:91], v[48:49]
	v_add_f64_e32 v[4:5], v[60:61], v[4:5]
	s_delay_alu instid0(VALU_DEP_4) | instskip(NEXT) | instid1(VALU_DEP_4)
	v_add_f64_e32 v[52:53], v[52:53], v[6:7]
	v_add_f64_e64 v[54:55], v[54:55], -v[78:79]
	s_delay_alu instid0(VALU_DEP_3) | instskip(SKIP_1) | instid1(VALU_DEP_3)
	v_add_f64_e32 v[6:7], v[48:49], v[4:5]
	v_mul_u32_u24_e32 v48, 13, v125
	v_add_f64_e32 v[4:5], v[54:55], v[52:53]
	s_delay_alu instid0(VALU_DEP_2)
	v_lshl_add_u32 v48, v48, 4, v215
	ds_store_b128 v48, v[32:35] offset:32
	ds_store_b128 v48, v[36:39] offset:48
	;; [unrolled: 1-line block ×11, first 2 shown]
	ds_store_b128 v48, v[0:3]
	scratch_load_b128 v[0:3], off, off offset:8 ; 16-byte Folded Reload
	s_wait_loadcnt 0x0
	ds_store_b128 v48, v[0:3] offset:192
.LBB0_7:
	s_wait_alu 0xfffe
	s_or_b32 exec_lo, exec_lo, s33
	v_and_b32_e32 v0, 0xff, v214
	v_and_b32_e32 v1, 0xff, v125
	global_wb scope:SCOPE_SE
	s_wait_storecnt_dscnt 0x0
	s_barrier_signal -1
	s_barrier_wait -1
	v_mul_lo_u16 v0, 0x4f, v0
	v_mul_lo_u16 v1, 0x4f, v1
	global_inv scope:SCOPE_SE
	v_add_co_u32 v85, null, 0x82, v214
	v_lshrrev_b16 v92, 10, v0
	v_lshrrev_b16 v87, 10, v1
	v_add_co_u32 v86, null, 0xc3, v214
	s_delay_alu instid0(VALU_DEP_4) | instskip(NEXT) | instid1(VALU_DEP_4)
	v_and_b32_e32 v91, 0xff, v85
	v_mul_lo_u16 v0, v92, 13
	s_delay_alu instid0(VALU_DEP_4) | instskip(NEXT) | instid1(VALU_DEP_4)
	v_mul_lo_u16 v1, v87, 13
	v_and_b32_e32 v90, 0xffff, v86
	v_add_co_u32 v84, null, 0x104, v214
	s_delay_alu instid0(VALU_DEP_4) | instskip(NEXT) | instid1(VALU_DEP_4)
	v_sub_nc_u16 v0, v214, v0
	v_sub_nc_u16 v1, v125, v1
	s_mov_b32 s2, 0x134454ff
	s_delay_alu instid0(VALU_DEP_3)
	v_and_b32_e32 v89, 0xffff, v84
	s_mov_b32 s3, 0x3fee6f0e
	v_and_b32_e32 v93, 0xff, v0
	v_and_b32_e32 v88, 0xff, v1
	s_mov_b32 s9, 0xbfee6f0e
	s_wait_alu 0xfffe
	s_mov_b32 s8, s2
	s_mov_b32 s14, 0x4755a5e
	v_lshlrev_b32_e32 v0, 6, v93
	v_lshlrev_b32_e32 v28, 6, v88
	s_mov_b32 s15, 0x3fe2cf23
	s_mov_b32 s17, 0xbfe2cf23
	s_wait_alu 0xfffe
	s_mov_b32 s16, s14
	s_clause 0x5
	global_load_b128 v[33:36], v0, s[0:1]
	global_load_b128 v[29:32], v28, s[0:1]
	global_load_b128 v[41:44], v0, s[0:1] offset:16
	global_load_b128 v[37:40], v28, s[0:1] offset:16
	;; [unrolled: 1-line block ×4, first 2 shown]
	ds_load_b128 v[0:3], v162 offset:5200
	ds_load_b128 v[8:11], v162 offset:6240
	;; [unrolled: 1-line block ×4, first 2 shown]
	s_mov_b32 s18, 0x372fe950
	s_mov_b32 s19, 0x3fd3c6ef
	v_lshl_add_u32 v163, v214, 4, v215
	s_wait_loadcnt_dscnt 0x402
	v_mul_f64_e32 v[22:23], v[10:11], v[31:32]
	v_mul_f64_e32 v[24:25], v[8:9], v[31:32]
	s_wait_loadcnt_dscnt 0x301
	v_mul_f64_e32 v[26:27], v[12:13], v[43:44]
	v_mul_f64_e32 v[4:5], v[2:3], v[35:36]
	;; [unrolled: 1-line block ×3, first 2 shown]
	s_wait_loadcnt 0x1
	scratch_store_b128 off, v[49:52], off offset:320 ; 16-byte Folded Spill
	s_wait_loadcnt 0x0
	s_clause 0x4
	scratch_store_b128 off, v[45:48], off offset:304
	scratch_store_b128 off, v[41:44], off offset:288
	;; [unrolled: 1-line block ×5, first 2 shown]
	v_fma_f64 v[6:7], v[0:1], v[33:34], -v[4:5]
	v_fma_f64 v[4:5], v[2:3], v[33:34], v[16:17]
	v_mul_f64_e32 v[16:17], v[14:15], v[43:44]
	v_fma_f64 v[2:3], v[8:9], v[29:30], -v[22:23]
	s_wait_dscnt 0x0
	v_mul_f64_e32 v[22:23], v[20:21], v[39:40]
	v_fma_f64 v[0:1], v[10:11], v[29:30], v[24:25]
	v_fma_f64 v[8:9], v[14:15], v[41:42], v[26:27]
	v_mul_f64_e32 v[24:25], v[18:19], v[39:40]
	v_fma_f64 v[10:11], v[12:13], v[41:42], -v[16:17]
	ds_load_b128 v[12:15], v162 offset:15600
	v_fma_f64 v[18:19], v[18:19], v[37:38], -v[22:23]
	v_fma_f64 v[16:17], v[20:21], v[37:38], v[24:25]
	s_wait_dscnt 0x0
	v_mul_f64_e32 v[22:23], v[12:13], v[51:52]
	v_mul_f64_e32 v[20:21], v[14:15], v[51:52]
	v_add_f64_e64 v[120:121], v[10:11], -v[6:7]
	v_add_f64_e64 v[126:127], v[18:19], -v[2:3]
	s_delay_alu instid0(VALU_DEP_4)
	v_fma_f64 v[72:73], v[14:15], v[49:50], v[22:23]
	global_load_b128 v[22:25], v28, s[0:1] offset:32
	v_fma_f64 v[74:75], v[12:13], v[49:50], -v[20:21]
	ds_load_b128 v[12:15], v162 offset:20800
	s_wait_dscnt 0x0
	v_mul_f64_e32 v[20:21], v[14:15], v[47:48]
	v_add_f64_e64 v[114:115], v[8:9], -v[72:73]
	v_add_f64_e32 v[104:105], v[10:11], v[74:75]
	v_add_f64_e64 v[118:119], v[10:11], -v[74:75]
	s_delay_alu instid0(VALU_DEP_4) | instskip(SKIP_1) | instid1(VALU_DEP_2)
	v_fma_f64 v[76:77], v[12:13], v[45:46], -v[20:21]
	v_mul_f64_e32 v[12:13], v[12:13], v[47:48]
	v_add_f64_e64 v[116:117], v[6:7], -v[76:77]
	s_delay_alu instid0(VALU_DEP_2)
	v_fma_f64 v[78:79], v[14:15], v[45:46], v[12:13]
	ds_load_b128 v[12:15], v162 offset:16640
	v_add_f64_e64 v[112:113], v[4:5], -v[78:79]
	s_wait_loadcnt_dscnt 0x0
	v_mul_f64_e32 v[20:21], v[14:15], v[24:25]
	scratch_store_b128 off, v[22:25], off offset:336 ; 16-byte Folded Spill
	v_fma_f64 v[66:67], v[12:13], v[22:23], -v[20:21]
	v_mul_f64_e32 v[12:13], v[12:13], v[24:25]
	s_delay_alu instid0(VALU_DEP_2) | instskip(NEXT) | instid1(VALU_DEP_2)
	v_add_f64_e64 v[122:123], v[18:19], -v[66:67]
	v_fma_f64 v[64:65], v[14:15], v[22:23], v[12:13]
	global_load_b128 v[22:25], v28, s[0:1] offset:48
	ds_load_b128 v[12:15], v162 offset:21840
	s_wait_loadcnt_dscnt 0x0
	v_mul_f64_e32 v[20:21], v[14:15], v[24:25]
	scratch_store_b128 off, v[22:25], off offset:352 ; 16-byte Folded Spill
	v_fma_f64 v[68:69], v[12:13], v[22:23], -v[20:21]
	v_mul_f64_e32 v[12:13], v[12:13], v[24:25]
	s_delay_alu instid0(VALU_DEP_1) | instskip(SKIP_1) | instid1(VALU_DEP_1)
	v_fma_f64 v[70:71], v[14:15], v[22:23], v[12:13]
	v_mul_lo_u16 v12, 0x4f, v91
	v_lshrrev_b16 v94, 10, v12
	s_delay_alu instid0(VALU_DEP_1) | instskip(NEXT) | instid1(VALU_DEP_1)
	v_mul_lo_u16 v12, v94, 13
	v_sub_nc_u16 v12, v85, v12
	s_delay_alu instid0(VALU_DEP_1)
	v_and_b32_e32 v95, 0xff, v12
	ds_load_b128 v[12:15], v162 offset:7280
	v_lshlrev_b32_e32 v22, 6, v95
	global_load_b128 v[23:26], v22, s[0:1]
	s_wait_loadcnt_dscnt 0x0
	v_mul_f64_e32 v[20:21], v[14:15], v[25:26]
	scratch_store_b128 off, v[23:26], off offset:368 ; 16-byte Folded Spill
	v_fma_f64 v[46:47], v[12:13], v[23:24], -v[20:21]
	v_mul_f64_e32 v[12:13], v[12:13], v[25:26]
	s_delay_alu instid0(VALU_DEP_1)
	v_fma_f64 v[44:45], v[14:15], v[23:24], v[12:13]
	global_load_b128 v[23:26], v22, s[0:1] offset:16
	ds_load_b128 v[12:15], v162 offset:12480
	s_wait_loadcnt_dscnt 0x0
	v_mul_f64_e32 v[20:21], v[14:15], v[25:26]
	scratch_store_b128 off, v[23:26], off offset:384 ; 16-byte Folded Spill
	v_fma_f64 v[52:53], v[12:13], v[23:24], -v[20:21]
	v_mul_f64_e32 v[12:13], v[12:13], v[25:26]
	s_delay_alu instid0(VALU_DEP_2) | instskip(NEXT) | instid1(VALU_DEP_2)
	v_add_f64_e64 v[132:133], v[52:53], -v[46:47]
	v_fma_f64 v[54:55], v[14:15], v[23:24], v[12:13]
	global_load_b128 v[23:26], v22, s[0:1] offset:32
	ds_load_b128 v[12:15], v162 offset:17680
	s_wait_loadcnt_dscnt 0x0
	v_mul_f64_e32 v[20:21], v[14:15], v[25:26]
	scratch_store_b128 off, v[23:26], off offset:400 ; 16-byte Folded Spill
	v_fma_f64 v[56:57], v[12:13], v[23:24], -v[20:21]
	v_mul_f64_e32 v[12:13], v[12:13], v[25:26]
	s_delay_alu instid0(VALU_DEP_2) | instskip(NEXT) | instid1(VALU_DEP_2)
	v_add_f64_e64 v[130:131], v[52:53], -v[56:57]
	;; [unrolled: 10-line block ×3, first 2 shown]
	v_fma_f64 v[62:63], v[14:15], v[22:23], v[12:13]
	v_mul_u32_u24_e32 v12, 0x4ec5, v90
	s_delay_alu instid0(VALU_DEP_1) | instskip(NEXT) | instid1(VALU_DEP_1)
	v_lshrrev_b32_e32 v96, 18, v12
	v_mul_lo_u16 v12, v96, 13
	s_delay_alu instid0(VALU_DEP_1) | instskip(NEXT) | instid1(VALU_DEP_1)
	v_sub_nc_u16 v97, v86, v12
	v_lshlrev_b16 v12, 2, v97
	s_delay_alu instid0(VALU_DEP_1) | instskip(NEXT) | instid1(VALU_DEP_1)
	v_and_b32_e32 v12, 0xffff, v12
	v_lshlrev_b32_e32 v32, 4, v12
	ds_load_b128 v[12:15], v162 offset:8320
	s_clause 0x1
	global_load_b128 v[24:27], v32, s[0:1]
	global_load_b128 v[33:36], v32, s[0:1] offset:32
	s_wait_loadcnt_dscnt 0x100
	v_mul_f64_e32 v[20:21], v[14:15], v[26:27]
	scratch_store_b128 off, v[24:27], off offset:432 ; 16-byte Folded Spill
	s_wait_loadcnt 0x0
	scratch_store_b128 off, v[33:36], off offset:448 ; 16-byte Folded Spill
	v_fma_f64 v[22:23], v[12:13], v[24:25], -v[20:21]
	v_mul_f64_e32 v[12:13], v[12:13], v[26:27]
	global_load_b128 v[26:29], v32, s[0:1] offset:16
	v_fma_f64 v[20:21], v[14:15], v[24:25], v[12:13]
	ds_load_b128 v[12:15], v162 offset:13520
	s_wait_loadcnt_dscnt 0x0
	v_mul_f64_e32 v[24:25], v[14:15], v[28:29]
	scratch_store_b128 off, v[26:29], off offset:464 ; 16-byte Folded Spill
	v_fma_f64 v[24:25], v[12:13], v[26:27], -v[24:25]
	v_mul_f64_e32 v[12:13], v[12:13], v[28:29]
	s_delay_alu instid0(VALU_DEP_1) | instskip(SKIP_3) | instid1(VALU_DEP_1)
	v_fma_f64 v[26:27], v[14:15], v[26:27], v[12:13]
	ds_load_b128 v[12:15], v162 offset:18720
	s_wait_dscnt 0x0
	v_mul_f64_e32 v[28:29], v[14:15], v[35:36]
	v_fma_f64 v[30:31], v[12:13], v[33:34], -v[28:29]
	v_mul_f64_e32 v[12:13], v[12:13], v[35:36]
	s_delay_alu instid0(VALU_DEP_1) | instskip(SKIP_4) | instid1(VALU_DEP_1)
	v_fma_f64 v[28:29], v[14:15], v[33:34], v[12:13]
	global_load_b128 v[34:37], v32, s[0:1] offset:48
	ds_load_b128 v[12:15], v162 offset:23920
	s_wait_loadcnt_dscnt 0x0
	v_mul_f64_e32 v[32:33], v[14:15], v[36:37]
	v_fma_f64 v[38:39], v[12:13], v[34:35], -v[32:33]
	v_mul_f64_e32 v[12:13], v[12:13], v[36:37]
	s_delay_alu instid0(VALU_DEP_1) | instskip(SKIP_1) | instid1(VALU_DEP_1)
	v_fma_f64 v[40:41], v[14:15], v[34:35], v[12:13]
	v_mul_u32_u24_e32 v12, 0x4ec5, v89
	v_lshrrev_b32_e32 v98, 18, v12
	s_delay_alu instid0(VALU_DEP_1) | instskip(NEXT) | instid1(VALU_DEP_1)
	v_mul_lo_u16 v12, v98, 13
	v_sub_nc_u16 v99, v84, v12
	s_delay_alu instid0(VALU_DEP_1) | instskip(NEXT) | instid1(VALU_DEP_1)
	v_lshlrev_b16 v12, 2, v99
	v_and_b32_e32 v12, 0xffff, v12
	s_delay_alu instid0(VALU_DEP_1)
	v_lshlrev_b32_e32 v80, 4, v12
	s_clause 0x1
	global_load_b128 v[48:51], v80, s[0:1]
	global_load_b128 v[100:103], v80, s[0:1] offset:32
	scratch_store_b128 off, v[34:37], off offset:480 ; 16-byte Folded Spill
	ds_load_b128 v[32:35], v162 offset:9360
	s_wait_loadcnt 0x1
	scratch_store_b128 off, v[48:51], off offset:512 ; 16-byte Folded Spill
	s_wait_dscnt 0x0
	v_mul_f64_e32 v[12:13], v[34:35], v[50:51]
	s_wait_loadcnt 0x0
	scratch_store_b128 off, v[100:103], off offset:608 ; 16-byte Folded Spill
	v_fma_f64 v[14:15], v[32:33], v[48:49], -v[12:13]
	v_mul_f64_e32 v[12:13], v[32:33], v[50:51]
	s_delay_alu instid0(VALU_DEP_1)
	v_fma_f64 v[12:13], v[34:35], v[48:49], v[12:13]
	global_load_b128 v[48:51], v80, s[0:1] offset:16
	ds_load_b128 v[34:37], v162 offset:14560
	s_wait_loadcnt_dscnt 0x0
	v_mul_f64_e32 v[32:33], v[36:37], v[50:51]
	scratch_store_b128 off, v[48:51], off offset:528 ; 16-byte Folded Spill
	v_fma_f64 v[32:33], v[34:35], v[48:49], -v[32:33]
	v_mul_f64_e32 v[34:35], v[34:35], v[50:51]
	s_delay_alu instid0(VALU_DEP_1) | instskip(SKIP_3) | instid1(VALU_DEP_1)
	v_fma_f64 v[34:35], v[36:37], v[48:49], v[34:35]
	ds_load_b128 v[48:51], v162 offset:19760
	s_wait_dscnt 0x0
	v_mul_f64_e32 v[36:37], v[50:51], v[102:103]
	v_fma_f64 v[42:43], v[48:49], v[100:101], -v[36:37]
	v_mul_f64_e32 v[36:37], v[48:49], v[102:103]
	s_delay_alu instid0(VALU_DEP_1)
	v_fma_f64 v[36:37], v[50:51], v[100:101], v[36:37]
	global_load_b128 v[100:103], v80, s[0:1] offset:48
	ds_load_b128 v[80:83], v162 offset:24960
	s_wait_loadcnt_dscnt 0x0
	v_mul_f64_e32 v[48:49], v[82:83], v[102:103]
	v_mul_f64_e32 v[50:51], v[80:81], v[102:103]
	scratch_store_b128 off, v[100:103], off offset:624 ; 16-byte Folded Spill
	v_fma_f64 v[48:49], v[80:81], v[100:101], -v[48:49]
	v_fma_f64 v[50:51], v[82:83], v[100:101], v[50:51]
	v_add_f64_e64 v[80:81], v[6:7], -v[10:11]
	v_add_f64_e64 v[82:83], v[76:77], -v[74:75]
	;; [unrolled: 1-line block ×3, first 2 shown]
	s_delay_alu instid0(VALU_DEP_2) | instskip(SKIP_1) | instid1(VALU_DEP_1)
	v_add_f64_e32 v[80:81], v[80:81], v[82:83]
	v_add_f64_e64 v[82:83], v[4:5], -v[8:9]
	v_add_f64_e32 v[82:83], v[82:83], v[100:101]
	ds_load_b128 v[100:103], v162
	s_wait_dscnt 0x0
	v_fma_f64 v[108:109], v[104:105], -0.5, v[100:101]
	v_add_f64_e32 v[104:105], v[8:9], v[72:73]
	s_delay_alu instid0(VALU_DEP_1) | instskip(NEXT) | instid1(VALU_DEP_3)
	v_fma_f64 v[110:111], v[104:105], -0.5, v[102:103]
	v_fma_f64 v[104:105], v[112:113], s[2:3], v[108:109]
	v_fma_f64 v[108:109], v[112:113], s[8:9], v[108:109]
	s_delay_alu instid0(VALU_DEP_3) | instskip(SKIP_1) | instid1(VALU_DEP_4)
	v_fma_f64 v[106:107], v[116:117], s[8:9], v[110:111]
	v_fma_f64 v[110:111], v[116:117], s[2:3], v[110:111]
	;; [unrolled: 1-line block ×3, first 2 shown]
	s_wait_alu 0xfffe
	s_delay_alu instid0(VALU_DEP_4) | instskip(NEXT) | instid1(VALU_DEP_4)
	v_fma_f64 v[108:109], v[114:115], s[16:17], v[108:109]
	v_fma_f64 v[106:107], v[118:119], s[16:17], v[106:107]
	s_delay_alu instid0(VALU_DEP_4) | instskip(NEXT) | instid1(VALU_DEP_4)
	v_fma_f64 v[110:111], v[118:119], s[14:15], v[110:111]
	v_fma_f64 v[104:105], v[80:81], s[18:19], v[104:105]
	s_delay_alu instid0(VALU_DEP_4) | instskip(SKIP_4) | instid1(VALU_DEP_4)
	v_fma_f64 v[80:81], v[80:81], s[18:19], v[108:109]
	v_add_f64_e32 v[108:109], v[6:7], v[76:77]
	v_fma_f64 v[106:107], v[82:83], s[18:19], v[106:107]
	v_fma_f64 v[82:83], v[82:83], s[18:19], v[110:111]
	v_add_f64_e32 v[110:111], v[4:5], v[78:79]
	v_fma_f64 v[108:109], v[108:109], -0.5, v[100:101]
	v_add_f64_e32 v[100:101], v[100:101], v[6:7]
	s_delay_alu instid0(VALU_DEP_3) | instskip(SKIP_1) | instid1(VALU_DEP_3)
	v_fma_f64 v[110:111], v[110:111], -0.5, v[102:103]
	v_add_f64_e32 v[102:103], v[102:103], v[4:5]
	v_add_f64_e32 v[6:7], v[100:101], v[10:11]
	s_delay_alu instid0(VALU_DEP_3) | instskip(NEXT) | instid1(VALU_DEP_3)
	v_fma_f64 v[100:101], v[118:119], s[8:9], v[110:111]
	v_add_f64_e32 v[10:11], v[102:103], v[8:9]
	v_add_f64_e64 v[8:9], v[8:9], -v[4:5]
	s_delay_alu instid0(VALU_DEP_4) | instskip(NEXT) | instid1(VALU_DEP_3)
	v_add_f64_e32 v[4:5], v[6:7], v[74:75]
	v_add_f64_e32 v[6:7], v[10:11], v[72:73]
	v_add_f64_e64 v[10:11], v[74:75], -v[76:77]
	s_delay_alu instid0(VALU_DEP_3)
	v_add_f64_e32 v[4:5], v[4:5], v[76:77]
	v_add_f64_e64 v[72:73], v[72:73], -v[78:79]
	v_fma_f64 v[74:75], v[114:115], s[8:9], v[108:109]
	v_fma_f64 v[76:77], v[114:115], s[2:3], v[108:109]
	v_add_f64_e32 v[6:7], v[6:7], v[78:79]
	v_fma_f64 v[78:79], v[118:119], s[2:3], v[110:111]
	v_add_f64_e32 v[102:103], v[120:121], v[10:11]
	v_add_f64_e32 v[108:109], v[8:9], v[72:73]
	v_fma_f64 v[8:9], v[112:113], s[14:15], v[74:75]
	v_fma_f64 v[72:73], v[112:113], s[16:17], v[76:77]
	;; [unrolled: 1-line block ×3, first 2 shown]
	v_add_f64_e64 v[76:77], v[2:3], -v[18:19]
	v_add_f64_e32 v[100:101], v[18:19], v[66:67]
	v_add_f64_e64 v[120:121], v[2:3], -v[68:69]
	v_add_f64_e64 v[118:119], v[16:17], -v[64:65]
	v_fma_f64 v[10:11], v[116:117], s[16:17], v[78:79]
	v_add_f64_e64 v[78:79], v[68:69], -v[66:67]
	v_add_f64_e64 v[116:117], v[0:1], -v[70:71]
	v_fma_f64 v[8:9], v[102:103], s[18:19], v[8:9]
	v_fma_f64 v[72:73], v[102:103], s[18:19], v[72:73]
	;; [unrolled: 1-line block ×4, first 2 shown]
	v_add_f64_e32 v[108:109], v[76:77], v[78:79]
	v_add_f64_e64 v[76:77], v[0:1], -v[16:17]
	v_add_f64_e64 v[78:79], v[70:71], -v[64:65]
	s_delay_alu instid0(VALU_DEP_1) | instskip(SKIP_4) | instid1(VALU_DEP_1)
	v_add_f64_e32 v[110:111], v[76:77], v[78:79]
	ds_load_b128 v[76:79], v162 offset:1040
	s_wait_dscnt 0x0
	v_fma_f64 v[112:113], v[100:101], -0.5, v[76:77]
	v_add_f64_e32 v[100:101], v[16:17], v[64:65]
	v_fma_f64 v[114:115], v[100:101], -0.5, v[78:79]
	s_delay_alu instid0(VALU_DEP_3) | instskip(SKIP_1) | instid1(VALU_DEP_3)
	v_fma_f64 v[100:101], v[116:117], s[2:3], v[112:113]
	v_fma_f64 v[112:113], v[116:117], s[8:9], v[112:113]
	;; [unrolled: 1-line block ×4, first 2 shown]
	s_delay_alu instid0(VALU_DEP_4) | instskip(NEXT) | instid1(VALU_DEP_4)
	v_fma_f64 v[100:101], v[118:119], s[14:15], v[100:101]
	v_fma_f64 v[112:113], v[118:119], s[16:17], v[112:113]
	s_delay_alu instid0(VALU_DEP_4) | instskip(NEXT) | instid1(VALU_DEP_4)
	v_fma_f64 v[102:103], v[122:123], s[16:17], v[102:103]
	v_fma_f64 v[114:115], v[122:123], s[14:15], v[114:115]
	;; [unrolled: 3-line block ×3, first 2 shown]
	v_add_f64_e32 v[112:113], v[2:3], v[68:69]
	v_fma_f64 v[102:103], v[110:111], s[18:19], v[102:103]
	v_fma_f64 v[110:111], v[110:111], s[18:19], v[114:115]
	v_add_f64_e32 v[114:115], v[0:1], v[70:71]
	s_delay_alu instid0(VALU_DEP_4) | instskip(SKIP_1) | instid1(VALU_DEP_3)
	v_fma_f64 v[112:113], v[112:113], -0.5, v[76:77]
	v_add_f64_e32 v[76:77], v[76:77], v[2:3]
	v_fma_f64 v[114:115], v[114:115], -0.5, v[78:79]
	v_add_f64_e32 v[78:79], v[78:79], v[0:1]
	s_delay_alu instid0(VALU_DEP_3) | instskip(NEXT) | instid1(VALU_DEP_3)
	v_add_f64_e32 v[2:3], v[76:77], v[18:19]
	v_fma_f64 v[76:77], v[122:123], s[8:9], v[114:115]
	s_delay_alu instid0(VALU_DEP_3) | instskip(SKIP_1) | instid1(VALU_DEP_4)
	v_add_f64_e32 v[18:19], v[78:79], v[16:17]
	v_add_f64_e64 v[16:17], v[16:17], -v[0:1]
	v_add_f64_e32 v[0:1], v[2:3], v[66:67]
	s_delay_alu instid0(VALU_DEP_3) | instskip(SKIP_1) | instid1(VALU_DEP_3)
	v_add_f64_e32 v[2:3], v[18:19], v[64:65]
	v_add_f64_e64 v[18:19], v[66:67], -v[68:69]
	v_add_f64_e32 v[0:1], v[0:1], v[68:69]
	v_add_f64_e64 v[64:65], v[64:65], -v[70:71]
	v_fma_f64 v[66:67], v[118:119], s[8:9], v[112:113]
	v_fma_f64 v[68:69], v[118:119], s[2:3], v[112:113]
	v_add_f64_e32 v[2:3], v[2:3], v[70:71]
	v_fma_f64 v[70:71], v[122:123], s[2:3], v[114:115]
	v_add_f64_e32 v[78:79], v[126:127], v[18:19]
	v_add_f64_e32 v[112:113], v[16:17], v[64:65]
	v_fma_f64 v[16:17], v[116:117], s[14:15], v[66:67]
	v_fma_f64 v[64:65], v[116:117], s[16:17], v[68:69]
	;; [unrolled: 1-line block ×3, first 2 shown]
	v_and_b32_e32 v68, 0xffff, v92
	v_add_f64_e64 v[122:123], v[44:45], -v[62:63]
	v_add_f64_e64 v[126:127], v[54:55], -v[58:59]
	s_delay_alu instid0(VALU_DEP_3) | instskip(NEXT) | instid1(VALU_DEP_1)
	v_mul_u32_u24_e32 v68, 0x41, v68
	v_add_nc_u32_e32 v68, v68, v93
	s_delay_alu instid0(VALU_DEP_1) | instskip(SKIP_4) | instid1(VALU_DEP_4)
	v_lshl_add_u32 v134, v68, 4, v215
	v_fma_f64 v[18:19], v[120:121], s[16:17], v[70:71]
	v_fma_f64 v[16:17], v[78:79], s[18:19], v[16:17]
	;; [unrolled: 1-line block ×5, first 2 shown]
	ds_load_b128 v[68:71], v162 offset:4160
	ds_load_b128 v[76:79], v162 offset:2080
	;; [unrolled: 1-line block ×3, first 2 shown]
	global_wb scope:SCOPE_SE
	s_wait_storecnt_dscnt 0x0
	s_barrier_signal -1
	s_barrier_wait -1
	global_inv scope:SCOPE_SE
	ds_store_b128 v134, v[4:7]
	v_add_f64_e64 v[4:5], v[46:47], -v[52:53]
	v_add_f64_e64 v[6:7], v[60:61], -v[56:57]
	ds_store_b128 v134, v[104:107] offset:208
	ds_store_b128 v134, v[8:11] offset:416
	;; [unrolled: 1-line block ×3, first 2 shown]
	v_and_b32_e32 v8, 0xffff, v87
	scratch_store_b32 off, v134, off offset:884 ; 4-byte Folded Spill
	ds_store_b128 v134, v[80:83] offset:832
	v_mul_u32_u24_e32 v8, 0x41, v8
	s_delay_alu instid0(VALU_DEP_1) | instskip(NEXT) | instid1(VALU_DEP_1)
	v_add_nc_u32_e32 v8, v8, v88
	v_lshl_add_u32 v193, v8, 4, v215
	ds_store_b128 v193, v[0:3]
	ds_store_b128 v193, v[100:103] offset:208
	ds_store_b128 v193, v[16:19] offset:416
	;; [unrolled: 1-line block ×4, first 2 shown]
	v_and_b32_e32 v0, 0xffff, v94
	s_delay_alu instid0(VALU_DEP_1) | instskip(SKIP_3) | instid1(VALU_DEP_4)
	v_mul_u32_u24_e32 v0, 0x41, v0
	v_add_f64_e32 v[92:93], v[4:5], v[6:7]
	v_add_f64_e64 v[4:5], v[44:45], -v[54:55]
	v_add_f64_e64 v[6:7], v[62:63], -v[58:59]
	v_add_nc_u32_e32 v0, v0, v95
	s_delay_alu instid0(VALU_DEP_1) | instskip(NEXT) | instid1(VALU_DEP_3)
	v_lshl_add_u32 v0, v0, 4, v215
	v_add_f64_e32 v[118:119], v[4:5], v[6:7]
	v_add_f64_e32 v[4:5], v[52:53], v[56:57]
	s_delay_alu instid0(VALU_DEP_1) | instskip(SKIP_1) | instid1(VALU_DEP_1)
	v_fma_f64 v[116:117], v[4:5], -0.5, v[76:77]
	v_add_f64_e32 v[4:5], v[54:55], v[58:59]
	v_fma_f64 v[120:121], v[4:5], -0.5, v[78:79]
	s_delay_alu instid0(VALU_DEP_3) | instskip(SKIP_1) | instid1(VALU_DEP_3)
	v_fma_f64 v[4:5], v[122:123], s[2:3], v[116:117]
	v_fma_f64 v[116:117], v[122:123], s[8:9], v[116:117]
	;; [unrolled: 1-line block ×4, first 2 shown]
	s_delay_alu instid0(VALU_DEP_4) | instskip(NEXT) | instid1(VALU_DEP_4)
	v_fma_f64 v[4:5], v[126:127], s[14:15], v[4:5]
	v_fma_f64 v[116:117], v[126:127], s[16:17], v[116:117]
	s_delay_alu instid0(VALU_DEP_4) | instskip(NEXT) | instid1(VALU_DEP_4)
	v_fma_f64 v[6:7], v[130:131], s[16:17], v[6:7]
	v_fma_f64 v[120:121], v[130:131], s[14:15], v[120:121]
	;; [unrolled: 3-line block ×3, first 2 shown]
	v_add_f64_e32 v[92:93], v[46:47], v[60:61]
	v_fma_f64 v[6:7], v[118:119], s[18:19], v[6:7]
	v_fma_f64 v[118:119], v[118:119], s[18:19], v[120:121]
	v_add_f64_e32 v[120:121], v[44:45], v[62:63]
	s_delay_alu instid0(VALU_DEP_4) | instskip(SKIP_1) | instid1(VALU_DEP_3)
	v_fma_f64 v[92:93], v[92:93], -0.5, v[76:77]
	v_add_f64_e32 v[76:77], v[76:77], v[46:47]
	v_fma_f64 v[120:121], v[120:121], -0.5, v[78:79]
	v_add_f64_e32 v[78:79], v[78:79], v[44:45]
	s_delay_alu instid0(VALU_DEP_3) | instskip(NEXT) | instid1(VALU_DEP_3)
	v_add_f64_e32 v[46:47], v[76:77], v[52:53]
	v_fma_f64 v[76:77], v[130:131], s[8:9], v[120:121]
	s_delay_alu instid0(VALU_DEP_3) | instskip(SKIP_1) | instid1(VALU_DEP_4)
	v_add_f64_e32 v[52:53], v[78:79], v[54:55]
	v_add_f64_e64 v[54:55], v[54:55], -v[44:45]
	v_add_f64_e32 v[44:45], v[46:47], v[56:57]
	s_delay_alu instid0(VALU_DEP_3) | instskip(SKIP_1) | instid1(VALU_DEP_3)
	v_add_f64_e32 v[46:47], v[52:53], v[58:59]
	v_add_f64_e64 v[52:53], v[56:57], -v[60:61]
	v_add_f64_e32 v[44:45], v[44:45], v[60:61]
	v_add_f64_e64 v[56:57], v[58:59], -v[62:63]
	v_fma_f64 v[60:61], v[126:127], s[2:3], v[92:93]
	v_fma_f64 v[58:59], v[126:127], s[8:9], v[92:93]
	v_add_f64_e64 v[126:127], v[26:27], -v[28:29]
	v_add_f64_e32 v[46:47], v[46:47], v[62:63]
	v_fma_f64 v[62:63], v[130:131], s[2:3], v[120:121]
	v_add_f64_e32 v[78:79], v[132:133], v[52:53]
	v_add_f64_e32 v[92:93], v[54:55], v[56:57]
	v_fma_f64 v[56:57], v[122:123], s[16:17], v[60:61]
	v_add_f64_e64 v[60:61], v[22:23], -v[24:25]
	v_fma_f64 v[52:53], v[122:123], s[14:15], v[58:59]
	v_fma_f64 v[58:59], v[128:129], s[14:15], v[76:77]
	v_add_f64_e64 v[122:123], v[20:21], -v[40:41]
	v_add_f64_e64 v[130:131], v[24:25], -v[30:31]
	;; [unrolled: 1-line block ×3, first 2 shown]
	v_fma_f64 v[54:55], v[128:129], s[16:17], v[62:63]
	v_add_f64_e64 v[62:63], v[38:39], -v[30:31]
	v_add_f64_e64 v[128:129], v[22:23], -v[38:39]
	v_fma_f64 v[56:57], v[78:79], s[18:19], v[56:57]
	v_fma_f64 v[52:53], v[78:79], s[18:19], v[52:53]
	;; [unrolled: 1-line block ×4, first 2 shown]
	v_add_f64_e32 v[76:77], v[60:61], v[62:63]
	v_add_f64_e64 v[60:61], v[20:21], -v[26:27]
	v_add_f64_e64 v[62:63], v[40:41], -v[28:29]
	ds_store_b128 v0, v[44:47]
	ds_store_b128 v0, v[4:7] offset:208
	ds_store_b128 v0, v[52:55] offset:416
	;; [unrolled: 1-line block ×3, first 2 shown]
	scratch_store_b32 off, v0, off offset:888 ; 4-byte Folded Spill
	ds_store_b128 v0, v[116:119] offset:832
	v_mad_u16 v0, 0x41, v96, v97
	v_add_f64_e32 v[78:79], v[60:61], v[62:63]
	v_add_f64_e32 v[60:61], v[24:25], v[30:31]
	s_delay_alu instid0(VALU_DEP_3) | instskip(NEXT) | instid1(VALU_DEP_1)
	v_and_b32_e32 v0, 0xffff, v0
	v_lshl_add_u32 v0, v0, 4, v215
	s_delay_alu instid0(VALU_DEP_3) | instskip(SKIP_1) | instid1(VALU_DEP_1)
	v_fma_f64 v[92:93], v[60:61], -0.5, v[112:113]
	v_add_f64_e32 v[60:61], v[26:27], v[28:29]
	v_fma_f64 v[120:121], v[60:61], -0.5, v[114:115]
	s_delay_alu instid0(VALU_DEP_3) | instskip(SKIP_1) | instid1(VALU_DEP_3)
	v_fma_f64 v[60:61], v[122:123], s[2:3], v[92:93]
	v_fma_f64 v[92:93], v[122:123], s[8:9], v[92:93]
	;; [unrolled: 1-line block ×4, first 2 shown]
	s_delay_alu instid0(VALU_DEP_4) | instskip(NEXT) | instid1(VALU_DEP_4)
	v_fma_f64 v[60:61], v[126:127], s[14:15], v[60:61]
	v_fma_f64 v[92:93], v[126:127], s[16:17], v[92:93]
	s_delay_alu instid0(VALU_DEP_4) | instskip(NEXT) | instid1(VALU_DEP_4)
	v_fma_f64 v[62:63], v[130:131], s[16:17], v[62:63]
	v_fma_f64 v[120:121], v[130:131], s[14:15], v[120:121]
	;; [unrolled: 3-line block ×3, first 2 shown]
	v_add_f64_e32 v[92:93], v[22:23], v[38:39]
	v_fma_f64 v[62:63], v[78:79], s[18:19], v[62:63]
	v_fma_f64 v[78:79], v[78:79], s[18:19], v[120:121]
	v_add_f64_e32 v[120:121], v[20:21], v[40:41]
	s_delay_alu instid0(VALU_DEP_4) | instskip(SKIP_1) | instid1(VALU_DEP_3)
	v_fma_f64 v[92:93], v[92:93], -0.5, v[112:113]
	v_add_f64_e32 v[112:113], v[112:113], v[22:23]
	v_fma_f64 v[120:121], v[120:121], -0.5, v[114:115]
	v_add_f64_e32 v[114:115], v[114:115], v[20:21]
	s_delay_alu instid0(VALU_DEP_3) | instskip(NEXT) | instid1(VALU_DEP_2)
	v_add_f64_e32 v[22:23], v[112:113], v[24:25]
	v_add_f64_e32 v[24:25], v[114:115], v[26:27]
	v_add_f64_e64 v[26:27], v[26:27], -v[20:21]
	s_delay_alu instid0(VALU_DEP_3) | instskip(NEXT) | instid1(VALU_DEP_3)
	v_add_f64_e32 v[20:21], v[22:23], v[30:31]
	v_add_f64_e32 v[22:23], v[24:25], v[28:29]
	v_add_f64_e64 v[24:25], v[30:31], -v[38:39]
	s_delay_alu instid0(VALU_DEP_3)
	v_add_f64_e32 v[20:21], v[20:21], v[38:39]
	v_add_f64_e64 v[28:29], v[28:29], -v[40:41]
	v_fma_f64 v[38:39], v[126:127], s[2:3], v[92:93]
	v_fma_f64 v[30:31], v[126:127], s[8:9], v[92:93]
	;; [unrolled: 1-line block ×3, first 2 shown]
	v_add_f64_e64 v[126:127], v[12:13], -v[50:51]
	v_add_f64_e32 v[22:23], v[22:23], v[40:41]
	v_fma_f64 v[40:41], v[130:131], s[2:3], v[120:121]
	v_add_f64_e32 v[112:113], v[132:133], v[24:25]
	v_add_f64_e32 v[114:115], v[26:27], v[28:29]
	v_fma_f64 v[28:29], v[122:123], s[16:17], v[38:39]
	v_add_f64_e64 v[38:39], v[32:33], -v[14:15]
	v_fma_f64 v[24:25], v[122:123], s[14:15], v[30:31]
	v_fma_f64 v[30:31], v[128:129], s[14:15], v[92:93]
	v_add_f64_e64 v[122:123], v[34:35], -v[36:37]
	v_add_f64_e64 v[130:131], v[14:15], -v[48:49]
	;; [unrolled: 1-line block ×3, first 2 shown]
	v_fma_f64 v[26:27], v[128:129], s[16:17], v[40:41]
	v_add_f64_e64 v[40:41], v[42:43], -v[48:49]
	v_add_f64_e64 v[128:129], v[32:33], -v[42:43]
	v_fma_f64 v[28:29], v[112:113], s[18:19], v[28:29]
	v_fma_f64 v[24:25], v[112:113], s[18:19], v[24:25]
	;; [unrolled: 1-line block ×4, first 2 shown]
	v_add_f64_e32 v[92:93], v[38:39], v[40:41]
	v_add_f64_e64 v[38:39], v[34:35], -v[12:13]
	v_add_f64_e64 v[40:41], v[36:37], -v[50:51]
	ds_store_b128 v0, v[20:23]
	ds_store_b128 v0, v[60:63] offset:208
	ds_store_b128 v0, v[24:27] offset:416
	;; [unrolled: 1-line block ×3, first 2 shown]
	scratch_store_b32 off, v0, off offset:880 ; 4-byte Folded Spill
	ds_store_b128 v0, v[76:79] offset:832
	v_mad_u16 v0, 0x41, v98, v99
	v_lshlrev_b32_e32 v76, 6, v214
	v_add_f64_e32 v[114:115], v[38:39], v[40:41]
	v_add_f64_e32 v[38:39], v[14:15], v[48:49]
	s_delay_alu instid0(VALU_DEP_4) | instskip(NEXT) | instid1(VALU_DEP_1)
	v_and_b32_e32 v0, 0xffff, v0
	v_lshl_add_u32 v0, v0, 4, v215
	s_delay_alu instid0(VALU_DEP_3) | instskip(SKIP_1) | instid1(VALU_DEP_1)
	v_fma_f64 v[112:113], v[38:39], -0.5, v[68:69]
	v_add_f64_e32 v[38:39], v[12:13], v[50:51]
	v_fma_f64 v[120:121], v[38:39], -0.5, v[70:71]
	s_delay_alu instid0(VALU_DEP_3) | instskip(SKIP_1) | instid1(VALU_DEP_3)
	v_fma_f64 v[38:39], v[122:123], s[8:9], v[112:113]
	v_fma_f64 v[112:113], v[122:123], s[2:3], v[112:113]
	v_fma_f64 v[40:41], v[128:129], s[2:3], v[120:121]
	v_fma_f64 v[120:121], v[128:129], s[8:9], v[120:121]
	s_delay_alu instid0(VALU_DEP_4) | instskip(NEXT) | instid1(VALU_DEP_4)
	v_fma_f64 v[38:39], v[126:127], s[14:15], v[38:39]
	v_fma_f64 v[112:113], v[126:127], s[16:17], v[112:113]
	s_delay_alu instid0(VALU_DEP_4) | instskip(NEXT) | instid1(VALU_DEP_4)
	v_fma_f64 v[40:41], v[130:131], s[16:17], v[40:41]
	v_fma_f64 v[120:121], v[130:131], s[14:15], v[120:121]
	s_delay_alu instid0(VALU_DEP_4) | instskip(NEXT) | instid1(VALU_DEP_4)
	v_fma_f64 v[38:39], v[92:93], s[18:19], v[38:39]
	v_fma_f64 v[112:113], v[92:93], s[18:19], v[112:113]
	v_add_f64_e32 v[92:93], v[32:33], v[42:43]
	v_fma_f64 v[40:41], v[114:115], s[18:19], v[40:41]
	v_fma_f64 v[114:115], v[114:115], s[18:19], v[120:121]
	v_add_f64_e32 v[120:121], v[34:35], v[36:37]
	s_delay_alu instid0(VALU_DEP_4) | instskip(SKIP_1) | instid1(VALU_DEP_3)
	v_fma_f64 v[92:93], v[92:93], -0.5, v[68:69]
	v_add_f64_e32 v[68:69], v[68:69], v[14:15]
	v_fma_f64 v[120:121], v[120:121], -0.5, v[70:71]
	v_add_f64_e32 v[70:71], v[70:71], v[12:13]
	s_delay_alu instid0(VALU_DEP_3) | instskip(NEXT) | instid1(VALU_DEP_3)
	v_add_f64_e32 v[14:15], v[68:69], v[32:33]
	v_fma_f64 v[68:69], v[130:131], s[2:3], v[120:121]
	s_delay_alu instid0(VALU_DEP_3) | instskip(SKIP_1) | instid1(VALU_DEP_4)
	v_add_f64_e32 v[32:33], v[70:71], v[34:35]
	v_add_f64_e64 v[34:35], v[12:13], -v[34:35]
	v_add_f64_e32 v[12:13], v[14:15], v[42:43]
	s_delay_alu instid0(VALU_DEP_3) | instskip(SKIP_1) | instid1(VALU_DEP_3)
	v_add_f64_e32 v[14:15], v[32:33], v[36:37]
	v_add_f64_e64 v[32:33], v[48:49], -v[42:43]
	v_add_f64_e32 v[12:13], v[12:13], v[48:49]
	v_add_f64_e64 v[36:37], v[50:51], -v[36:37]
	v_fma_f64 v[42:43], v[126:127], s[2:3], v[92:93]
	v_fma_f64 v[48:49], v[126:127], s[8:9], v[92:93]
	v_add_f64_e32 v[14:15], v[14:15], v[50:51]
	v_fma_f64 v[50:51], v[130:131], s[8:9], v[120:121]
	v_add_f64_e32 v[70:71], v[132:133], v[32:33]
	v_add_f64_e32 v[36:37], v[34:35], v[36:37]
	v_fma_f64 v[32:33], v[122:123], s[14:15], v[42:43]
	v_fma_f64 v[42:43], v[122:123], s[16:17], v[48:49]
	;; [unrolled: 1-line block ×4, first 2 shown]
	s_delay_alu instid0(VALU_DEP_4) | instskip(NEXT) | instid1(VALU_DEP_4)
	v_fma_f64 v[32:33], v[70:71], s[18:19], v[32:33]
	v_fma_f64 v[48:49], v[70:71], s[18:19], v[42:43]
	s_delay_alu instid0(VALU_DEP_4) | instskip(NEXT) | instid1(VALU_DEP_4)
	v_fma_f64 v[34:35], v[36:37], s[18:19], v[34:35]
	v_fma_f64 v[50:51], v[36:37], s[18:19], v[50:51]
	ds_store_b128 v0, v[12:15]
	ds_store_b128 v0, v[32:35] offset:208
	ds_store_b128 v0, v[38:41] offset:416
	;; [unrolled: 1-line block ×3, first 2 shown]
	scratch_store_b32 off, v0, off offset:876 ; 4-byte Folded Spill
	ds_store_b128 v0, v[48:51] offset:832
	global_wb scope:SCOPE_SE
	s_wait_storecnt_dscnt 0x0
	s_barrier_signal -1
	s_barrier_wait -1
	global_inv scope:SCOPE_SE
	s_clause 0x3
	global_load_b128 v[164:167], v76, s[0:1] offset:832
	global_load_b128 v[228:231], v76, s[0:1] offset:848
	;; [unrolled: 1-line block ×4, first 2 shown]
	ds_load_b128 v[0:3], v162 offset:5200
	ds_load_b128 v[32:35], v162
	s_wait_loadcnt_dscnt 0x301
	v_mul_f64_e32 v[4:5], v[2:3], v[166:167]
	s_delay_alu instid0(VALU_DEP_1) | instskip(SKIP_1) | instid1(VALU_DEP_1)
	v_fma_f64 v[36:37], v[0:1], v[164:165], -v[4:5]
	v_mul_f64_e32 v[0:1], v[0:1], v[166:167]
	v_fma_f64 v[38:39], v[2:3], v[164:165], v[0:1]
	ds_load_b128 v[0:3], v162 offset:10400
	s_wait_loadcnt_dscnt 0x200
	v_mul_f64_e32 v[4:5], v[2:3], v[230:231]
	s_delay_alu instid0(VALU_DEP_1) | instskip(SKIP_1) | instid1(VALU_DEP_1)
	v_fma_f64 v[40:41], v[0:1], v[228:229], -v[4:5]
	v_mul_f64_e32 v[0:1], v[0:1], v[230:231]
	v_fma_f64 v[42:43], v[2:3], v[228:229], v[0:1]
	ds_load_b128 v[0:3], v162 offset:15600
	s_wait_loadcnt_dscnt 0x100
	v_mul_f64_e32 v[4:5], v[2:3], v[226:227]
	s_delay_alu instid0(VALU_DEP_1) | instskip(SKIP_1) | instid1(VALU_DEP_2)
	v_fma_f64 v[44:45], v[0:1], v[224:225], -v[4:5]
	v_mul_f64_e32 v[0:1], v[0:1], v[226:227]
	v_add_f64_e64 v[138:139], v[40:41], -v[44:45]
	s_delay_alu instid0(VALU_DEP_2) | instskip(SKIP_4) | instid1(VALU_DEP_2)
	v_fma_f64 v[46:47], v[2:3], v[224:225], v[0:1]
	ds_load_b128 v[0:3], v162 offset:20800
	s_wait_loadcnt_dscnt 0x0
	v_mul_f64_e32 v[4:5], v[2:3], v[222:223]
	v_add_f64_e64 v[130:131], v[42:43], -v[46:47]
	v_fma_f64 v[80:81], v[0:1], v[220:221], -v[4:5]
	v_mul_f64_e32 v[0:1], v[0:1], v[222:223]
	s_delay_alu instid0(VALU_DEP_2) | instskip(NEXT) | instid1(VALU_DEP_2)
	v_add_f64_e64 v[132:133], v[36:37], -v[80:81]
	v_fma_f64 v[87:88], v[2:3], v[220:221], v[0:1]
	ds_load_b128 v[0:3], v162 offset:6240
	s_wait_dscnt 0x0
	v_mul_f64_e32 v[4:5], v[2:3], v[166:167]
	v_add_f64_e64 v[108:109], v[38:39], -v[87:88]
	s_delay_alu instid0(VALU_DEP_2) | instskip(SKIP_1) | instid1(VALU_DEP_1)
	v_fma_f64 v[92:93], v[0:1], v[164:165], -v[4:5]
	v_mul_f64_e32 v[0:1], v[0:1], v[166:167]
	v_fma_f64 v[94:95], v[2:3], v[164:165], v[0:1]
	ds_load_b128 v[0:3], v162 offset:11440
	s_wait_dscnt 0x0
	v_mul_f64_e32 v[4:5], v[2:3], v[230:231]
	s_delay_alu instid0(VALU_DEP_1) | instskip(SKIP_1) | instid1(VALU_DEP_1)
	v_fma_f64 v[96:97], v[0:1], v[228:229], -v[4:5]
	v_mul_f64_e32 v[0:1], v[0:1], v[230:231]
	v_fma_f64 v[98:99], v[2:3], v[228:229], v[0:1]
	ds_load_b128 v[0:3], v162 offset:16640
	s_wait_dscnt 0x0
	v_mul_f64_e32 v[4:5], v[2:3], v[226:227]
	s_delay_alu instid0(VALU_DEP_1) | instskip(SKIP_1) | instid1(VALU_DEP_2)
	v_fma_f64 v[100:101], v[0:1], v[224:225], -v[4:5]
	v_mul_f64_e32 v[0:1], v[0:1], v[226:227]
	v_add_f64_e64 v[142:143], v[96:97], -v[100:101]
	s_delay_alu instid0(VALU_DEP_2) | instskip(SKIP_3) | instid1(VALU_DEP_1)
	v_fma_f64 v[102:103], v[2:3], v[224:225], v[0:1]
	ds_load_b128 v[0:3], v162 offset:21840
	s_wait_dscnt 0x0
	v_mul_f64_e32 v[4:5], v[2:3], v[222:223]
	v_fma_f64 v[104:105], v[0:1], v[220:221], -v[4:5]
	v_mul_f64_e32 v[0:1], v[0:1], v[222:223]
	s_delay_alu instid0(VALU_DEP_1) | instskip(SKIP_1) | instid1(VALU_DEP_1)
	v_fma_f64 v[106:107], v[2:3], v[220:221], v[0:1]
	v_mul_lo_u16 v0, 0xfd, v91
	v_lshrrev_b16 v0, 14, v0
	s_delay_alu instid0(VALU_DEP_1) | instskip(NEXT) | instid1(VALU_DEP_1)
	v_mul_lo_u16 v0, 0x41, v0
	v_sub_nc_u16 v0, v85, v0
	s_delay_alu instid0(VALU_DEP_1)
	v_and_b32_e32 v77, 0xff, v0
	ds_load_b128 v[0:3], v162 offset:7280
	v_lshlrev_b32_e32 v6, 6, v77
	s_clause 0x3
	global_load_b128 v[244:247], v6, s[0:1] offset:832
	global_load_b128 v[236:239], v6, s[0:1] offset:848
	;; [unrolled: 1-line block ×4, first 2 shown]
	s_wait_loadcnt_dscnt 0x300
	v_mul_f64_e32 v[4:5], v[2:3], v[246:247]
	s_delay_alu instid0(VALU_DEP_1) | instskip(SKIP_1) | instid1(VALU_DEP_1)
	v_fma_f64 v[111:112], v[0:1], v[244:245], -v[4:5]
	v_mul_f64_e32 v[0:1], v[0:1], v[246:247]
	v_fma_f64 v[113:114], v[2:3], v[244:245], v[0:1]
	ds_load_b128 v[0:3], v162 offset:12480
	s_wait_loadcnt_dscnt 0x200
	v_mul_f64_e32 v[4:5], v[2:3], v[238:239]
	s_delay_alu instid0(VALU_DEP_1) | instskip(SKIP_1) | instid1(VALU_DEP_1)
	v_fma_f64 v[115:116], v[0:1], v[236:237], -v[4:5]
	v_mul_f64_e32 v[0:1], v[0:1], v[238:239]
	v_fma_f64 v[117:118], v[2:3], v[236:237], v[0:1]
	ds_load_b128 v[0:3], v162 offset:17680
	s_wait_loadcnt_dscnt 0x100
	v_mul_f64_e32 v[4:5], v[2:3], v[242:243]
	s_delay_alu instid0(VALU_DEP_1) | instskip(SKIP_1) | instid1(VALU_DEP_2)
	v_fma_f64 v[119:120], v[0:1], v[240:241], -v[4:5]
	v_mul_f64_e32 v[0:1], v[0:1], v[242:243]
	v_add_f64_e64 v[144:145], v[115:116], -v[119:120]
	s_delay_alu instid0(VALU_DEP_2) | instskip(SKIP_3) | instid1(VALU_DEP_1)
	v_fma_f64 v[121:122], v[2:3], v[240:241], v[0:1]
	ds_load_b128 v[0:3], v162 offset:22880
	s_wait_loadcnt_dscnt 0x0
	v_mul_f64_e32 v[4:5], v[2:3], v[234:235]
	v_fma_f64 v[126:127], v[0:1], v[232:233], -v[4:5]
	v_mul_f64_e32 v[0:1], v[0:1], v[234:235]
	s_delay_alu instid0(VALU_DEP_1) | instskip(SKIP_1) | instid1(VALU_DEP_1)
	v_fma_f64 v[128:129], v[2:3], v[232:233], v[0:1]
	v_mul_u32_u24_e32 v0, 0xfc1, v90
	v_lshrrev_b32_e32 v0, 18, v0
	s_delay_alu instid0(VALU_DEP_1) | instskip(NEXT) | instid1(VALU_DEP_1)
	v_mul_lo_u16 v0, 0x41, v0
	v_sub_nc_u16 v78, v86, v0
	s_delay_alu instid0(VALU_DEP_1) | instskip(NEXT) | instid1(VALU_DEP_1)
	v_lshlrev_b16 v0, 6, v78
	v_and_b32_e32 v0, 0xffff, v0
	s_delay_alu instid0(VALU_DEP_1)
	v_add_co_u32 v12, s20, s0, v0
	s_wait_alu 0xf1ff
	v_add_co_ci_u32_e64 v13, null, s1, 0, s20
	ds_load_b128 v[0:3], v162 offset:8320
	s_clause 0x2
	global_load_b128 v[4:7], v[12:13], off offset:832
	global_load_b128 v[252:255], v[12:13], off offset:864
	;; [unrolled: 1-line block ×3, first 2 shown]
	s_wait_loadcnt_dscnt 0x200
	v_mul_f64_e32 v[8:9], v[2:3], v[6:7]
	s_delay_alu instid0(VALU_DEP_1)
	v_fma_f64 v[66:67], v[0:1], v[4:5], -v[8:9]
	v_mul_f64_e32 v[0:1], v[0:1], v[6:7]
	ds_load_b128 v[8:11], v162 offset:13520
	v_fma_f64 v[64:65], v[2:3], v[4:5], v[0:1]
	global_load_b128 v[0:3], v[12:13], off offset:848
	s_wait_loadcnt_dscnt 0x0
	v_mul_f64_e32 v[14:15], v[10:11], v[2:3]
	s_delay_alu instid0(VALU_DEP_1) | instskip(SKIP_1) | instid1(VALU_DEP_2)
	v_fma_f64 v[70:71], v[8:9], v[0:1], -v[14:15]
	v_mul_f64_e32 v[8:9], v[8:9], v[2:3]
	v_add_f64_e64 v[150:151], v[70:71], -v[66:67]
	s_delay_alu instid0(VALU_DEP_2) | instskip(SKIP_3) | instid1(VALU_DEP_1)
	v_fma_f64 v[68:69], v[10:11], v[0:1], v[8:9]
	ds_load_b128 v[8:11], v162 offset:18720
	s_wait_dscnt 0x0
	v_mul_f64_e32 v[14:15], v[10:11], v[254:255]
	v_fma_f64 v[74:75], v[8:9], v[252:253], -v[14:15]
	v_mul_f64_e32 v[8:9], v[8:9], v[254:255]
	s_delay_alu instid0(VALU_DEP_2) | instskip(NEXT) | instid1(VALU_DEP_2)
	v_add_f64_e64 v[148:149], v[70:71], -v[74:75]
	v_fma_f64 v[72:73], v[10:11], v[252:253], v[8:9]
	ds_load_b128 v[8:11], v162 offset:23920
	s_wait_dscnt 0x0
	v_mul_f64_e32 v[12:13], v[10:11], v[250:251]
	s_delay_alu instid0(VALU_DEP_1) | instskip(SKIP_1) | instid1(VALU_DEP_2)
	v_fma_f64 v[134:135], v[8:9], v[248:249], -v[12:13]
	v_mul_f64_e32 v[8:9], v[8:9], v[250:251]
	v_add_f64_e64 v[146:147], v[66:67], -v[134:135]
	s_delay_alu instid0(VALU_DEP_2) | instskip(SKIP_1) | instid1(VALU_DEP_1)
	v_fma_f64 v[136:137], v[10:11], v[248:249], v[8:9]
	v_mul_u32_u24_e32 v8, 0xfc1, v89
	v_lshrrev_b32_e32 v8, 18, v8
	s_delay_alu instid0(VALU_DEP_1) | instskip(NEXT) | instid1(VALU_DEP_1)
	v_mul_lo_u16 v8, 0x41, v8
	v_sub_nc_u16 v79, v84, v8
	s_delay_alu instid0(VALU_DEP_1) | instskip(NEXT) | instid1(VALU_DEP_1)
	v_lshlrev_b16 v8, 6, v79
	v_and_b32_e32 v8, 0xffff, v8
	s_delay_alu instid0(VALU_DEP_1)
	v_add_co_u32 v24, s20, s0, v8
	s_wait_alu 0xf1ff
	v_add_co_ci_u32_e64 v25, null, s1, 0, s20
	ds_load_b128 v[8:11], v162 offset:9360
	s_clause 0x1
	global_load_b128 v[20:23], v[24:25], off offset:832
	global_load_b128 v[16:19], v[24:25], off offset:848
	s_wait_loadcnt_dscnt 0x100
	v_mul_f64_e32 v[12:13], v[10:11], v[22:23]
	s_delay_alu instid0(VALU_DEP_1) | instskip(SKIP_1) | instid1(VALU_DEP_1)
	v_fma_f64 v[50:51], v[8:9], v[20:21], -v[12:13]
	v_mul_f64_e32 v[8:9], v[8:9], v[22:23]
	v_fma_f64 v[48:49], v[10:11], v[20:21], v[8:9]
	ds_load_b128 v[8:11], v162 offset:14560
	s_wait_loadcnt_dscnt 0x0
	v_mul_f64_e32 v[12:13], v[10:11], v[18:19]
	s_delay_alu instid0(VALU_DEP_1) | instskip(SKIP_3) | instid1(VALU_DEP_2)
	v_fma_f64 v[52:53], v[8:9], v[16:17], -v[12:13]
	global_load_b128 v[12:15], v[24:25], off offset:864
	v_mul_f64_e32 v[8:9], v[8:9], v[18:19]
	v_add_f64_e64 v[154:155], v[50:51], -v[52:53]
	v_fma_f64 v[54:55], v[10:11], v[16:17], v[8:9]
	ds_load_b128 v[8:11], v162 offset:19760
	s_wait_loadcnt_dscnt 0x0
	v_mul_f64_e32 v[26:27], v[10:11], v[14:15]
	s_delay_alu instid0(VALU_DEP_1) | instskip(SKIP_1) | instid1(VALU_DEP_1)
	v_fma_f64 v[58:59], v[8:9], v[12:13], -v[26:27]
	v_mul_f64_e32 v[8:9], v[8:9], v[14:15]
	v_fma_f64 v[56:57], v[10:11], v[12:13], v[8:9]
	global_load_b128 v[8:11], v[24:25], off offset:880
	ds_load_b128 v[24:27], v162 offset:24960
	s_wait_loadcnt_dscnt 0x0
	v_mul_f64_e32 v[28:29], v[26:27], v[10:11]
	s_delay_alu instid0(VALU_DEP_1) | instskip(SKIP_1) | instid1(VALU_DEP_2)
	v_fma_f64 v[60:61], v[24:25], v[8:9], -v[28:29]
	v_mul_f64_e32 v[24:25], v[24:25], v[10:11]
	v_add_f64_e64 v[152:153], v[50:51], -v[60:61]
	s_delay_alu instid0(VALU_DEP_2) | instskip(SKIP_2) | instid1(VALU_DEP_1)
	v_fma_f64 v[62:63], v[26:27], v[8:9], v[24:25]
	v_add_f64_e64 v[24:25], v[36:37], -v[40:41]
	v_add_f64_e64 v[26:27], v[80:81], -v[44:45]
	v_add_f64_e32 v[28:29], v[24:25], v[26:27]
	v_add_f64_e64 v[24:25], v[38:39], -v[42:43]
	v_add_f64_e64 v[26:27], v[87:88], -v[46:47]
	s_delay_alu instid0(VALU_DEP_1) | instskip(SKIP_1) | instid1(VALU_DEP_1)
	v_add_f64_e32 v[30:31], v[24:25], v[26:27]
	v_add_f64_e32 v[24:25], v[40:41], v[44:45]
	v_fma_f64 v[82:83], v[24:25], -0.5, v[32:33]
	v_add_f64_e32 v[24:25], v[42:43], v[46:47]
	s_delay_alu instid0(VALU_DEP_1) | instskip(NEXT) | instid1(VALU_DEP_3)
	v_fma_f64 v[89:90], v[24:25], -0.5, v[34:35]
	v_fma_f64 v[24:25], v[108:109], s[2:3], v[82:83]
	v_fma_f64 v[82:83], v[108:109], s[8:9], v[82:83]
	s_delay_alu instid0(VALU_DEP_3) | instskip(NEXT) | instid1(VALU_DEP_3)
	v_fma_f64 v[26:27], v[132:133], s[8:9], v[89:90]
	v_fma_f64 v[24:25], v[130:131], s[14:15], v[24:25]
	;; [unrolled: 1-line block ×3, first 2 shown]
	s_delay_alu instid0(VALU_DEP_4) | instskip(NEXT) | instid1(VALU_DEP_4)
	v_fma_f64 v[82:83], v[130:131], s[16:17], v[82:83]
	v_fma_f64 v[26:27], v[138:139], s[16:17], v[26:27]
	s_delay_alu instid0(VALU_DEP_4) | instskip(NEXT) | instid1(VALU_DEP_4)
	v_fma_f64 v[24:25], v[28:29], s[18:19], v[24:25]
	v_fma_f64 v[89:90], v[138:139], s[14:15], v[89:90]
	s_delay_alu instid0(VALU_DEP_4) | instskip(SKIP_2) | instid1(VALU_DEP_4)
	v_fma_f64 v[28:29], v[28:29], s[18:19], v[82:83]
	v_add_f64_e32 v[82:83], v[36:37], v[80:81]
	v_fma_f64 v[26:27], v[30:31], s[18:19], v[26:27]
	v_fma_f64 v[30:31], v[30:31], s[18:19], v[89:90]
	s_delay_alu instid0(VALU_DEP_3) | instskip(SKIP_3) | instid1(VALU_DEP_3)
	v_fma_f64 v[89:90], v[82:83], -0.5, v[32:33]
	v_add_f64_e32 v[82:83], v[38:39], v[87:88]
	v_add_f64_e32 v[32:33], v[32:33], v[36:37]
	v_add_f64_e64 v[36:37], v[40:41], -v[36:37]
	v_fma_f64 v[140:141], v[82:83], -0.5, v[34:35]
	v_add_f64_e32 v[34:35], v[34:35], v[38:39]
	s_delay_alu instid0(VALU_DEP_4) | instskip(SKIP_2) | instid1(VALU_DEP_4)
	v_add_f64_e32 v[32:33], v[32:33], v[40:41]
	v_add_f64_e64 v[38:39], v[42:43], -v[38:39]
	v_add_f64_e64 v[40:41], v[44:45], -v[80:81]
	v_add_f64_e32 v[34:35], v[34:35], v[42:43]
	s_delay_alu instid0(VALU_DEP_4)
	v_add_f64_e32 v[32:33], v[32:33], v[44:45]
	v_fma_f64 v[42:43], v[130:131], s[2:3], v[89:90]
	v_fma_f64 v[44:45], v[138:139], s[2:3], v[140:141]
	v_add_f64_e32 v[36:37], v[36:37], v[40:41]
	v_add_f64_e32 v[34:35], v[34:35], v[46:47]
	;; [unrolled: 1-line block ×3, first 2 shown]
	v_add_f64_e64 v[32:33], v[46:47], -v[87:88]
	v_fma_f64 v[46:47], v[138:139], s[8:9], v[140:141]
	v_fma_f64 v[40:41], v[108:109], s[16:17], v[42:43]
	v_add_f64_e64 v[140:141], v[92:93], -v[104:105]
	v_add_f64_e64 v[138:139], v[98:99], -v[102:103]
	v_add_f64_e32 v[82:83], v[34:35], v[87:88]
	v_fma_f64 v[34:35], v[130:131], s[8:9], v[89:90]
	v_add_f64_e32 v[38:39], v[38:39], v[32:33]
	v_fma_f64 v[42:43], v[132:133], s[14:15], v[46:47]
	ds_load_b128 v[87:90], v162 offset:1040
	v_fma_f64 v[32:33], v[108:109], s[14:15], v[34:35]
	v_fma_f64 v[34:35], v[132:133], s[16:17], v[44:45]
	v_add_f64_e64 v[132:133], v[94:95], -v[106:107]
	s_delay_alu instid0(VALU_DEP_3) | instskip(NEXT) | instid1(VALU_DEP_3)
	v_fma_f64 v[32:33], v[36:37], s[18:19], v[32:33]
	v_fma_f64 v[34:35], v[38:39], s[18:19], v[34:35]
	;; [unrolled: 1-line block ×4, first 2 shown]
	v_add_f64_e64 v[40:41], v[92:93], -v[96:97]
	v_add_f64_e64 v[42:43], v[104:105], -v[100:101]
	s_delay_alu instid0(VALU_DEP_1) | instskip(SKIP_2) | instid1(VALU_DEP_1)
	v_add_f64_e32 v[44:45], v[40:41], v[42:43]
	v_add_f64_e64 v[40:41], v[94:95], -v[98:99]
	v_add_f64_e64 v[42:43], v[106:107], -v[102:103]
	v_add_f64_e32 v[46:47], v[40:41], v[42:43]
	v_add_f64_e32 v[40:41], v[96:97], v[100:101]
	s_wait_dscnt 0x0
	s_delay_alu instid0(VALU_DEP_1) | instskip(SKIP_1) | instid1(VALU_DEP_1)
	v_fma_f64 v[108:109], v[40:41], -0.5, v[87:88]
	v_add_f64_e32 v[40:41], v[98:99], v[102:103]
	v_fma_f64 v[130:131], v[40:41], -0.5, v[89:90]
	s_delay_alu instid0(VALU_DEP_3) | instskip(SKIP_1) | instid1(VALU_DEP_3)
	v_fma_f64 v[40:41], v[132:133], s[2:3], v[108:109]
	v_fma_f64 v[108:109], v[132:133], s[8:9], v[108:109]
	;; [unrolled: 1-line block ×4, first 2 shown]
	s_delay_alu instid0(VALU_DEP_4) | instskip(NEXT) | instid1(VALU_DEP_4)
	v_fma_f64 v[40:41], v[138:139], s[14:15], v[40:41]
	v_fma_f64 v[108:109], v[138:139], s[16:17], v[108:109]
	s_delay_alu instid0(VALU_DEP_4) | instskip(NEXT) | instid1(VALU_DEP_4)
	v_fma_f64 v[42:43], v[142:143], s[16:17], v[42:43]
	v_fma_f64 v[130:131], v[142:143], s[14:15], v[130:131]
	;; [unrolled: 3-line block ×3, first 2 shown]
	v_add_f64_e32 v[108:109], v[92:93], v[104:105]
	v_fma_f64 v[42:43], v[46:47], s[18:19], v[42:43]
	v_fma_f64 v[46:47], v[46:47], s[18:19], v[130:131]
	v_add_f64_e32 v[130:131], v[94:95], v[106:107]
	s_delay_alu instid0(VALU_DEP_4) | instskip(SKIP_2) | instid1(VALU_DEP_4)
	v_fma_f64 v[108:109], v[108:109], -0.5, v[87:88]
	v_add_f64_e32 v[87:88], v[87:88], v[92:93]
	v_add_f64_e64 v[91:92], v[96:97], -v[92:93]
	v_fma_f64 v[130:131], v[130:131], -0.5, v[89:90]
	v_add_f64_e32 v[89:90], v[89:90], v[94:95]
	v_add_f64_e64 v[93:94], v[98:99], -v[94:95]
	v_add_f64_e32 v[87:88], v[87:88], v[96:97]
	v_add_f64_e64 v[95:96], v[100:101], -v[104:105]
	s_delay_alu instid0(VALU_DEP_4) | instskip(SKIP_1) | instid1(VALU_DEP_4)
	v_add_f64_e32 v[89:90], v[89:90], v[98:99]
	v_add_f64_e64 v[97:98], v[102:103], -v[106:107]
	v_add_f64_e32 v[87:88], v[87:88], v[100:101]
	v_fma_f64 v[99:100], v[138:139], s[8:9], v[108:109]
	v_add_f64_e32 v[95:96], v[91:92], v[95:96]
	v_add_f64_e32 v[89:90], v[89:90], v[102:103]
	v_fma_f64 v[101:102], v[138:139], s[2:3], v[108:109]
	v_add_f64_e32 v[87:88], v[87:88], v[104:105]
	v_fma_f64 v[103:104], v[142:143], s[2:3], v[130:131]
	;; [unrolled: 2-line block ×3, first 2 shown]
	v_add_f64_e64 v[138:139], v[113:114], -v[128:129]
	v_add_f64_e32 v[89:90], v[89:90], v[106:107]
	v_fma_f64 v[105:106], v[142:143], s[8:9], v[130:131]
	v_fma_f64 v[99:100], v[132:133], s[16:17], v[101:102]
	;; [unrolled: 1-line block ×3, first 2 shown]
	v_add_f64_e32 v[103:104], v[115:116], v[119:120]
	v_fma_f64 v[91:92], v[95:96], s[18:19], v[91:92]
	v_add_f64_e64 v[142:143], v[111:112], -v[126:127]
	v_fma_f64 v[101:102], v[140:141], s[14:15], v[105:106]
	v_fma_f64 v[95:96], v[95:96], s[18:19], v[99:100]
	;; [unrolled: 1-line block ×3, first 2 shown]
	v_add_f64_e64 v[99:100], v[111:112], -v[115:116]
	v_add_f64_e64 v[140:141], v[117:118], -v[121:122]
	v_fma_f64 v[97:98], v[97:98], s[18:19], v[101:102]
	v_add_f64_e64 v[101:102], v[126:127], -v[119:120]
	s_delay_alu instid0(VALU_DEP_1) | instskip(SKIP_2) | instid1(VALU_DEP_1)
	v_add_f64_e32 v[107:108], v[99:100], v[101:102]
	v_add_f64_e64 v[99:100], v[113:114], -v[117:118]
	v_add_f64_e64 v[101:102], v[128:129], -v[121:122]
	v_add_f64_e32 v[109:110], v[99:100], v[101:102]
	ds_load_b128 v[99:102], v162 offset:2080
	s_wait_dscnt 0x0
	v_fma_f64 v[130:131], v[103:104], -0.5, v[99:100]
	v_add_f64_e32 v[103:104], v[117:118], v[121:122]
	s_delay_alu instid0(VALU_DEP_1) | instskip(NEXT) | instid1(VALU_DEP_3)
	v_fma_f64 v[132:133], v[103:104], -0.5, v[101:102]
	v_fma_f64 v[103:104], v[138:139], s[2:3], v[130:131]
	v_fma_f64 v[130:131], v[138:139], s[8:9], v[130:131]
	s_delay_alu instid0(VALU_DEP_3) | instskip(SKIP_1) | instid1(VALU_DEP_4)
	v_fma_f64 v[105:106], v[142:143], s[8:9], v[132:133]
	v_fma_f64 v[132:133], v[142:143], s[2:3], v[132:133]
	;; [unrolled: 1-line block ×3, first 2 shown]
	s_delay_alu instid0(VALU_DEP_4) | instskip(NEXT) | instid1(VALU_DEP_4)
	v_fma_f64 v[130:131], v[140:141], s[16:17], v[130:131]
	v_fma_f64 v[105:106], v[144:145], s[16:17], v[105:106]
	s_delay_alu instid0(VALU_DEP_4) | instskip(NEXT) | instid1(VALU_DEP_4)
	v_fma_f64 v[132:133], v[144:145], s[14:15], v[132:133]
	v_fma_f64 v[103:104], v[107:108], s[18:19], v[103:104]
	s_delay_alu instid0(VALU_DEP_4) | instskip(SKIP_4) | instid1(VALU_DEP_4)
	v_fma_f64 v[107:108], v[107:108], s[18:19], v[130:131]
	v_add_f64_e32 v[130:131], v[111:112], v[126:127]
	v_fma_f64 v[105:106], v[109:110], s[18:19], v[105:106]
	v_fma_f64 v[109:110], v[109:110], s[18:19], v[132:133]
	v_add_f64_e32 v[132:133], v[113:114], v[128:129]
	v_fma_f64 v[130:131], v[130:131], -0.5, v[99:100]
	v_add_f64_e32 v[99:100], v[99:100], v[111:112]
	v_add_f64_e64 v[111:112], v[115:116], -v[111:112]
	s_delay_alu instid0(VALU_DEP_4) | instskip(SKIP_4) | instid1(VALU_DEP_4)
	v_fma_f64 v[132:133], v[132:133], -0.5, v[101:102]
	v_add_f64_e32 v[101:102], v[101:102], v[113:114]
	v_add_f64_e64 v[113:114], v[117:118], -v[113:114]
	v_add_f64_e32 v[99:100], v[99:100], v[115:116]
	v_add_f64_e64 v[115:116], v[119:120], -v[126:127]
	;; [unrolled: 2-line block ×3, first 2 shown]
	s_delay_alu instid0(VALU_DEP_4)
	v_add_f64_e32 v[99:100], v[99:100], v[119:120]
	v_fma_f64 v[119:120], v[140:141], s[8:9], v[130:131]
	v_add_f64_e32 v[115:116], v[111:112], v[115:116]
	v_add_f64_e32 v[101:102], v[101:102], v[121:122]
	v_fma_f64 v[121:122], v[140:141], s[2:3], v[130:131]
	v_add_f64_e32 v[99:100], v[99:100], v[126:127]
	v_fma_f64 v[126:127], v[144:145], s[2:3], v[132:133]
	;; [unrolled: 2-line block ×4, first 2 shown]
	v_fma_f64 v[119:120], v[138:139], s[16:17], v[121:122]
	v_fma_f64 v[113:114], v[142:143], s[16:17], v[126:127]
	v_add_f64_e32 v[126:127], v[70:71], v[74:75]
	v_fma_f64 v[111:112], v[115:116], s[18:19], v[111:112]
	v_add_f64_e64 v[144:145], v[68:69], -v[72:73]
	v_fma_f64 v[121:122], v[142:143], s[14:15], v[128:129]
	v_fma_f64 v[115:116], v[115:116], s[18:19], v[119:120]
	;; [unrolled: 1-line block ×3, first 2 shown]
	v_add_f64_e64 v[119:120], v[66:67], -v[70:71]
	v_add_f64_e64 v[142:143], v[64:65], -v[136:137]
	v_fma_f64 v[117:118], v[117:118], s[18:19], v[121:122]
	v_add_f64_e64 v[121:122], v[134:135], -v[74:75]
	s_delay_alu instid0(VALU_DEP_1) | instskip(SKIP_2) | instid1(VALU_DEP_1)
	v_add_f64_e32 v[130:131], v[119:120], v[121:122]
	v_add_f64_e64 v[119:120], v[64:65], -v[68:69]
	v_add_f64_e64 v[121:122], v[136:137], -v[72:73]
	v_add_f64_e32 v[132:133], v[119:120], v[121:122]
	ds_load_b128 v[119:122], v162 offset:3120
	s_wait_dscnt 0x0
	v_fma_f64 v[138:139], v[126:127], -0.5, v[119:120]
	v_add_f64_e32 v[126:127], v[68:69], v[72:73]
	s_delay_alu instid0(VALU_DEP_1) | instskip(NEXT) | instid1(VALU_DEP_3)
	v_fma_f64 v[140:141], v[126:127], -0.5, v[121:122]
	v_fma_f64 v[126:127], v[142:143], s[2:3], v[138:139]
	v_fma_f64 v[138:139], v[142:143], s[8:9], v[138:139]
	s_delay_alu instid0(VALU_DEP_3) | instskip(NEXT) | instid1(VALU_DEP_3)
	v_fma_f64 v[128:129], v[146:147], s[8:9], v[140:141]
	v_fma_f64 v[126:127], v[144:145], s[14:15], v[126:127]
	;; [unrolled: 1-line block ×3, first 2 shown]
	s_delay_alu instid0(VALU_DEP_4) | instskip(NEXT) | instid1(VALU_DEP_4)
	v_fma_f64 v[138:139], v[144:145], s[16:17], v[138:139]
	v_fma_f64 v[128:129], v[148:149], s[16:17], v[128:129]
	s_delay_alu instid0(VALU_DEP_4) | instskip(NEXT) | instid1(VALU_DEP_4)
	v_fma_f64 v[126:127], v[130:131], s[18:19], v[126:127]
	v_fma_f64 v[140:141], v[148:149], s[14:15], v[140:141]
	s_delay_alu instid0(VALU_DEP_4) | instskip(SKIP_2) | instid1(VALU_DEP_4)
	v_fma_f64 v[130:131], v[130:131], s[18:19], v[138:139]
	v_add_f64_e32 v[138:139], v[66:67], v[134:135]
	v_fma_f64 v[128:129], v[132:133], s[18:19], v[128:129]
	v_fma_f64 v[132:133], v[132:133], s[18:19], v[140:141]
	v_add_f64_e32 v[140:141], v[64:65], v[136:137]
	s_delay_alu instid0(VALU_DEP_4) | instskip(SKIP_1) | instid1(VALU_DEP_3)
	v_fma_f64 v[138:139], v[138:139], -0.5, v[119:120]
	v_add_f64_e32 v[119:120], v[119:120], v[66:67]
	v_fma_f64 v[140:141], v[140:141], -0.5, v[121:122]
	v_add_f64_e32 v[121:122], v[121:122], v[64:65]
	s_delay_alu instid0(VALU_DEP_3) | instskip(SKIP_1) | instid1(VALU_DEP_3)
	v_add_f64_e32 v[66:67], v[119:120], v[70:71]
	v_fma_f64 v[119:120], v[144:145], s[2:3], v[138:139]
	v_add_f64_e32 v[70:71], v[121:122], v[68:69]
	v_add_f64_e64 v[68:69], v[68:69], -v[64:65]
	s_delay_alu instid0(VALU_DEP_4) | instskip(SKIP_1) | instid1(VALU_DEP_4)
	v_add_f64_e32 v[64:65], v[66:67], v[74:75]
	v_fma_f64 v[121:122], v[148:149], s[2:3], v[140:141]
	v_add_f64_e32 v[66:67], v[70:71], v[72:73]
	v_add_f64_e64 v[70:71], v[74:75], -v[134:135]
	s_delay_alu instid0(VALU_DEP_4)
	v_add_f64_e32 v[64:65], v[64:65], v[134:135]
	v_add_f64_e64 v[72:73], v[72:73], -v[136:137]
	v_fma_f64 v[74:75], v[144:145], s[8:9], v[138:139]
	v_fma_f64 v[134:135], v[148:149], s[8:9], v[140:141]
	v_add_f64_e64 v[148:149], v[48:49], -v[62:63]
	v_add_f64_e32 v[66:67], v[66:67], v[136:137]
	v_add_f64_e32 v[136:137], v[150:151], v[70:71]
	v_fma_f64 v[70:71], v[146:147], s[16:17], v[121:122]
	v_add_f64_e32 v[138:139], v[68:69], v[72:73]
	v_fma_f64 v[68:69], v[142:143], s[14:15], v[74:75]
	v_fma_f64 v[72:73], v[142:143], s[16:17], v[119:120]
	;; [unrolled: 1-line block ×3, first 2 shown]
	v_add_f64_e64 v[119:120], v[52:53], -v[50:51]
	v_add_f64_e64 v[121:122], v[58:59], -v[60:61]
	v_add_f64_e32 v[134:135], v[50:51], v[60:61]
	v_add_f64_e64 v[146:147], v[54:55], -v[56:57]
	v_add_f64_e64 v[150:151], v[52:53], -v[58:59]
	v_fma_f64 v[70:71], v[138:139], s[18:19], v[70:71]
	v_fma_f64 v[68:69], v[136:137], s[18:19], v[68:69]
	;; [unrolled: 1-line block ×4, first 2 shown]
	v_add_f64_e32 v[138:139], v[119:120], v[121:122]
	v_add_f64_e64 v[119:120], v[54:55], -v[48:49]
	v_add_f64_e64 v[121:122], v[56:57], -v[62:63]
	s_delay_alu instid0(VALU_DEP_1)
	v_add_f64_e32 v[140:141], v[119:120], v[121:122]
	ds_load_b128 v[119:122], v162 offset:4160
	global_wb scope:SCOPE_SE
	s_wait_dscnt 0x0
	s_barrier_signal -1
	s_barrier_wait -1
	global_inv scope:SCOPE_SE
	ds_store_b128 v162, v[80:83]
	ds_store_b128 v162, v[87:90] offset:5200
	ds_store_b128 v162, v[24:27] offset:1040
	;; [unrolled: 1-line block ×9, first 2 shown]
	v_lshl_add_u32 v24, v77, 4, v215
	ds_store_b128 v24, v[99:102] offset:10400
	ds_store_b128 v24, v[103:106] offset:11440
	;; [unrolled: 1-line block ×4, first 2 shown]
	scratch_store_b32 off, v24, off offset:872 ; 4-byte Folded Spill
	ds_store_b128 v24, v[107:110] offset:14560
	v_and_b32_e32 v24, 0xffff, v78
	v_lshlrev_b32_e32 v34, 6, v125
	v_lshlrev_b32_e32 v44, 6, v86
	s_delay_alu instid0(VALU_DEP_3)
	v_lshl_add_u32 v24, v24, 4, v215
	v_fma_f64 v[142:143], v[134:135], -0.5, v[119:120]
	v_add_f64_e32 v[134:135], v[48:49], v[62:63]
	ds_store_b128 v24, v[64:67] offset:15600
	ds_store_b128 v24, v[126:129] offset:16640
	;; [unrolled: 1-line block ×4, first 2 shown]
	scratch_store_b32 off, v24, off offset:836 ; 4-byte Folded Spill
	ds_store_b128 v24, v[130:133] offset:19760
	v_and_b32_e32 v24, 0xffff, v79
	v_lshlrev_b32_e32 v70, 6, v84
	s_delay_alu instid0(VALU_DEP_2) | instskip(SKIP_3) | instid1(VALU_DEP_3)
	v_lshl_add_u32 v24, v24, 4, v215
	v_fma_f64 v[144:145], v[134:135], -0.5, v[121:122]
	v_fma_f64 v[134:135], v[146:147], s[8:9], v[142:143]
	v_fma_f64 v[142:143], v[146:147], s[2:3], v[142:143]
	;; [unrolled: 1-line block ×4, first 2 shown]
	s_delay_alu instid0(VALU_DEP_4) | instskip(NEXT) | instid1(VALU_DEP_4)
	v_fma_f64 v[134:135], v[148:149], s[14:15], v[134:135]
	v_fma_f64 v[142:143], v[148:149], s[16:17], v[142:143]
	s_delay_alu instid0(VALU_DEP_4) | instskip(NEXT) | instid1(VALU_DEP_4)
	v_fma_f64 v[136:137], v[152:153], s[16:17], v[136:137]
	v_fma_f64 v[144:145], v[152:153], s[14:15], v[144:145]
	;; [unrolled: 3-line block ×3, first 2 shown]
	v_add_f64_e32 v[142:143], v[52:53], v[58:59]
	v_fma_f64 v[136:137], v[140:141], s[18:19], v[136:137]
	v_fma_f64 v[140:141], v[140:141], s[18:19], v[144:145]
	v_add_f64_e32 v[144:145], v[54:55], v[56:57]
	s_delay_alu instid0(VALU_DEP_4) | instskip(SKIP_1) | instid1(VALU_DEP_3)
	v_fma_f64 v[142:143], v[142:143], -0.5, v[119:120]
	v_add_f64_e32 v[119:120], v[119:120], v[50:51]
	v_fma_f64 v[144:145], v[144:145], -0.5, v[121:122]
	v_add_f64_e32 v[121:122], v[121:122], v[48:49]
	s_delay_alu instid0(VALU_DEP_3) | instskip(NEXT) | instid1(VALU_DEP_3)
	v_add_f64_e32 v[50:51], v[119:120], v[52:53]
	v_fma_f64 v[119:120], v[152:153], s[2:3], v[144:145]
	s_delay_alu instid0(VALU_DEP_3) | instskip(SKIP_1) | instid1(VALU_DEP_4)
	v_add_f64_e32 v[52:53], v[121:122], v[54:55]
	v_add_f64_e64 v[54:55], v[48:49], -v[54:55]
	v_add_f64_e32 v[48:49], v[50:51], v[58:59]
	s_delay_alu instid0(VALU_DEP_3) | instskip(SKIP_1) | instid1(VALU_DEP_3)
	v_add_f64_e32 v[50:51], v[52:53], v[56:57]
	v_add_f64_e64 v[52:53], v[60:61], -v[58:59]
	v_add_f64_e32 v[48:49], v[48:49], v[60:61]
	v_add_f64_e64 v[56:57], v[62:63], -v[56:57]
	v_fma_f64 v[58:59], v[148:149], s[2:3], v[142:143]
	v_fma_f64 v[60:61], v[148:149], s[8:9], v[142:143]
	v_add_f64_e32 v[50:51], v[50:51], v[62:63]
	v_fma_f64 v[62:63], v[152:153], s[8:9], v[144:145]
	v_add_f64_e32 v[121:122], v[154:155], v[52:53]
	v_add_f64_e32 v[142:143], v[54:55], v[56:57]
	v_fma_f64 v[52:53], v[146:147], s[14:15], v[58:59]
	v_fma_f64 v[56:57], v[146:147], s[16:17], v[60:61]
	v_fma_f64 v[58:59], v[150:151], s[14:15], v[119:120]
	v_fma_f64 v[54:55], v[150:151], s[16:17], v[62:63]
	s_delay_alu instid0(VALU_DEP_4) | instskip(NEXT) | instid1(VALU_DEP_4)
	v_fma_f64 v[52:53], v[121:122], s[18:19], v[52:53]
	v_fma_f64 v[56:57], v[121:122], s[18:19], v[56:57]
	s_delay_alu instid0(VALU_DEP_4) | instskip(NEXT) | instid1(VALU_DEP_4)
	v_fma_f64 v[58:59], v[142:143], s[18:19], v[58:59]
	v_fma_f64 v[54:55], v[142:143], s[18:19], v[54:55]
	ds_store_b128 v24, v[48:51] offset:20800
	ds_store_b128 v24, v[52:55] offset:21840
	;; [unrolled: 1-line block ×4, first 2 shown]
	scratch_store_b32 off, v24, off offset:768 ; 4-byte Folded Spill
	ds_store_b128 v24, v[56:59] offset:24960
	global_wb scope:SCOPE_SE
	s_wait_storecnt_dscnt 0x0
	s_barrier_signal -1
	s_barrier_wait -1
	global_inv scope:SCOPE_SE
	s_clause 0x1
	global_load_b128 v[30:33], v76, s[0:1] offset:4992
	global_load_b128 v[38:41], v76, s[0:1] offset:5008
	ds_load_b128 v[24:27], v162 offset:5200
	s_clause 0x2
	global_load_b128 v[216:219], v76, s[0:1] offset:5024
	global_load_b128 v[64:67], v44, s[0:1] offset:5008
	;; [unrolled: 1-line block ×3, first 2 shown]
	s_wait_loadcnt_dscnt 0x400
	v_mul_f64_e32 v[28:29], v[26:27], v[32:33]
	scratch_store_b128 off, v[30:33], off offset:772 ; 16-byte Folded Spill
	s_wait_loadcnt 0x3
	scratch_store_b128 off, v[38:41], off offset:856 ; 16-byte Folded Spill
	s_wait_loadcnt 0x1
	scratch_store_b128 off, v[64:67], off offset:640 ; 16-byte Folded Spill
	s_wait_loadcnt 0x0
	scratch_store_b128 off, v[71:74], off offset:544 ; 16-byte Folded Spill
	v_fma_f64 v[28:29], v[24:25], v[30:31], -v[28:29]
	v_mul_f64_e32 v[24:25], v[24:25], v[32:33]
	s_delay_alu instid0(VALU_DEP_1) | instskip(SKIP_3) | instid1(VALU_DEP_1)
	v_fma_f64 v[30:31], v[26:27], v[30:31], v[24:25]
	ds_load_b128 v[24:27], v162 offset:10400
	s_wait_dscnt 0x0
	v_mul_f64_e32 v[32:33], v[26:27], v[40:41]
	v_fma_f64 v[36:37], v[24:25], v[38:39], -v[32:33]
	v_mul_f64_e32 v[24:25], v[24:25], v[40:41]
	global_load_b128 v[40:43], v76, s[0:1] offset:5040
	v_fma_f64 v[38:39], v[26:27], v[38:39], v[24:25]
	ds_load_b128 v[24:27], v162 offset:15600
	s_wait_dscnt 0x0
	v_mul_f64_e32 v[32:33], v[26:27], v[218:219]
	s_delay_alu instid0(VALU_DEP_1) | instskip(SKIP_1) | instid1(VALU_DEP_2)
	v_fma_f64 v[52:53], v[24:25], v[216:217], -v[32:33]
	v_mul_f64_e32 v[24:25], v[24:25], v[218:219]
	v_add_f64_e64 v[90:91], v[36:37], -v[52:53]
	s_delay_alu instid0(VALU_DEP_2)
	v_fma_f64 v[54:55], v[26:27], v[216:217], v[24:25]
	ds_load_b128 v[24:27], v162 offset:20800
	v_add_f64_e64 v[86:87], v[38:39], -v[54:55]
	s_wait_loadcnt_dscnt 0x0
	v_mul_f64_e32 v[32:33], v[26:27], v[42:43]
	scratch_store_b128 off, v[40:43], off offset:840 ; 16-byte Folded Spill
	v_fma_f64 v[56:57], v[24:25], v[40:41], -v[32:33]
	v_mul_f64_e32 v[24:25], v[24:25], v[42:43]
	s_delay_alu instid0(VALU_DEP_2) | instskip(NEXT) | instid1(VALU_DEP_2)
	v_add_f64_e64 v[88:89], v[28:29], -v[56:57]
	v_fma_f64 v[58:59], v[26:27], v[40:41], v[24:25]
	global_load_b128 v[40:43], v34, s[0:1] offset:4992
	ds_load_b128 v[24:27], v162 offset:6240
	s_wait_loadcnt_dscnt 0x0
	v_mul_f64_e32 v[32:33], v[26:27], v[42:43]
	scratch_store_b128 off, v[40:43], off offset:720 ; 16-byte Folded Spill
	v_fma_f64 v[60:61], v[24:25], v[40:41], -v[32:33]
	v_mul_f64_e32 v[24:25], v[24:25], v[42:43]
	s_delay_alu instid0(VALU_DEP_1)
	v_fma_f64 v[62:63], v[26:27], v[40:41], v[24:25]
	global_load_b128 v[40:43], v34, s[0:1] offset:5008
	ds_load_b128 v[24:27], v162 offset:11440
	s_wait_loadcnt_dscnt 0x0
	v_mul_f64_e32 v[32:33], v[26:27], v[42:43]
	scratch_store_b128 off, v[40:43], off offset:704 ; 16-byte Folded Spill
	v_fma_f64 v[104:105], v[24:25], v[40:41], -v[32:33]
	v_mul_f64_e32 v[24:25], v[24:25], v[42:43]
	s_delay_alu instid0(VALU_DEP_1)
	v_fma_f64 v[106:107], v[26:27], v[40:41], v[24:25]
	global_load_b128 v[40:43], v34, s[0:1] offset:5024
	ds_load_b128 v[24:27], v162 offset:16640
	s_wait_loadcnt_dscnt 0x0
	v_mul_f64_e32 v[32:33], v[26:27], v[42:43]
	scratch_store_b128 off, v[40:43], off offset:688 ; 16-byte Folded Spill
	v_fma_f64 v[108:109], v[24:25], v[40:41], -v[32:33]
	v_mul_f64_e32 v[24:25], v[24:25], v[42:43]
	s_delay_alu instid0(VALU_DEP_2) | instskip(NEXT) | instid1(VALU_DEP_2)
	v_add_f64_e64 v[116:117], v[104:105], -v[108:109]
	v_fma_f64 v[110:111], v[26:27], v[40:41], v[24:25]
	global_load_b128 v[40:43], v34, s[0:1] offset:5040
	ds_load_b128 v[24:27], v162 offset:21840
	v_lshlrev_b32_e32 v34, 6, v85
	v_add_f64_e64 v[84:85], v[30:31], -v[58:59]
	s_wait_loadcnt_dscnt 0x0
	v_mul_f64_e32 v[32:33], v[26:27], v[42:43]
	scratch_store_b128 off, v[40:43], off offset:672 ; 16-byte Folded Spill
	v_fma_f64 v[112:113], v[24:25], v[40:41], -v[32:33]
	v_mul_f64_e32 v[24:25], v[24:25], v[42:43]
	s_delay_alu instid0(VALU_DEP_1)
	v_fma_f64 v[114:115], v[26:27], v[40:41], v[24:25]
	global_load_b128 v[40:43], v34, s[0:1] offset:4992
	ds_load_b128 v[24:27], v162 offset:7280
	s_wait_loadcnt_dscnt 0x0
	v_mul_f64_e32 v[32:33], v[26:27], v[42:43]
	scratch_store_b128 off, v[40:43], off offset:788 ; 16-byte Folded Spill
	v_fma_f64 v[120:121], v[24:25], v[40:41], -v[32:33]
	v_mul_f64_e32 v[24:25], v[24:25], v[42:43]
	s_delay_alu instid0(VALU_DEP_1)
	v_fma_f64 v[122:123], v[26:27], v[40:41], v[24:25]
	global_load_b128 v[40:43], v34, s[0:1] offset:5008
	ds_load_b128 v[24:27], v162 offset:12480
	s_wait_loadcnt_dscnt 0x0
	v_mul_f64_e32 v[32:33], v[26:27], v[42:43]
	scratch_store_b128 off, v[40:43], off offset:820 ; 16-byte Folded Spill
	v_fma_f64 v[125:126], v[24:25], v[40:41], -v[32:33]
	v_mul_f64_e32 v[24:25], v[24:25], v[42:43]
	s_delay_alu instid0(VALU_DEP_1)
	v_fma_f64 v[127:128], v[26:27], v[40:41], v[24:25]
	global_load_b128 v[40:43], v34, s[0:1] offset:5024
	ds_load_b128 v[24:27], v162 offset:17680
	s_wait_loadcnt_dscnt 0x0
	v_mul_f64_e32 v[32:33], v[26:27], v[42:43]
	scratch_store_b128 off, v[40:43], off offset:736 ; 16-byte Folded Spill
	v_fma_f64 v[129:130], v[24:25], v[40:41], -v[32:33]
	v_mul_f64_e32 v[24:25], v[24:25], v[42:43]
	s_delay_alu instid0(VALU_DEP_1)
	v_fma_f64 v[131:132], v[26:27], v[40:41], v[24:25]
	global_load_b128 v[40:43], v34, s[0:1] offset:5040
	ds_load_b128 v[24:27], v162 offset:22880
	s_wait_loadcnt_dscnt 0x0
	v_mul_f64_e32 v[32:33], v[26:27], v[42:43]
	scratch_store_b128 off, v[40:43], off offset:752 ; 16-byte Folded Spill
	v_fma_f64 v[133:134], v[24:25], v[40:41], -v[32:33]
	v_mul_f64_e32 v[24:25], v[24:25], v[42:43]
	s_delay_alu instid0(VALU_DEP_1)
	v_fma_f64 v[135:136], v[26:27], v[40:41], v[24:25]
	global_load_b128 v[40:43], v44, s[0:1] offset:4992
	ds_load_b128 v[24:27], v162 offset:8320
	s_wait_loadcnt_dscnt 0x0
	v_mul_f64_e32 v[32:33], v[26:27], v[42:43]
	scratch_store_b128 off, v[40:43], off offset:804 ; 16-byte Folded Spill
	v_fma_f64 v[34:35], v[24:25], v[40:41], -v[32:33]
	v_mul_f64_e32 v[24:25], v[24:25], v[42:43]
	s_delay_alu instid0(VALU_DEP_1) | instskip(SKIP_3) | instid1(VALU_DEP_1)
	v_fma_f64 v[32:33], v[26:27], v[40:41], v[24:25]
	ds_load_b128 v[24:27], v162 offset:13520
	s_wait_dscnt 0x0
	v_mul_f64_e32 v[40:41], v[26:27], v[66:67]
	v_fma_f64 v[48:49], v[24:25], v[64:65], -v[40:41]
	v_mul_f64_e32 v[24:25], v[24:25], v[66:67]
	s_delay_alu instid0(VALU_DEP_2) | instskip(NEXT) | instid1(VALU_DEP_2)
	v_add_f64_e64 v[141:142], v[48:49], -v[34:35]
	v_fma_f64 v[40:41], v[26:27], v[64:65], v[24:25]
	global_load_b128 v[64:67], v44, s[0:1] offset:5024
	ds_load_b128 v[24:27], v162 offset:18720
	s_wait_loadcnt_dscnt 0x0
	v_mul_f64_e32 v[42:43], v[26:27], v[66:67]
	scratch_store_b128 off, v[64:67], off offset:656 ; 16-byte Folded Spill
	v_fma_f64 v[50:51], v[24:25], v[64:65], -v[42:43]
	v_mul_f64_e32 v[24:25], v[24:25], v[66:67]
	s_delay_alu instid0(VALU_DEP_1)
	v_fma_f64 v[42:43], v[26:27], v[64:65], v[24:25]
	global_load_b128 v[64:67], v44, s[0:1] offset:5040
	ds_load_b128 v[24:27], v162 offset:23920
	s_wait_loadcnt_dscnt 0x0
	v_mul_f64_e32 v[44:45], v[26:27], v[66:67]
	scratch_store_b128 off, v[64:67], off offset:592 ; 16-byte Folded Spill
	v_fma_f64 v[137:138], v[24:25], v[64:65], -v[44:45]
	v_mul_f64_e32 v[24:25], v[24:25], v[66:67]
	s_delay_alu instid0(VALU_DEP_1)
	v_fma_f64 v[139:140], v[26:27], v[64:65], v[24:25]
	global_load_b128 v[64:67], v70, s[0:1] offset:4992
	ds_load_b128 v[24:27], v162 offset:9360
	s_wait_loadcnt_dscnt 0x0
	v_mul_f64_e32 v[44:45], v[26:27], v[66:67]
	scratch_store_b128 off, v[64:67], off offset:496 ; 16-byte Folded Spill
	v_fma_f64 v[46:47], v[24:25], v[64:65], -v[44:45]
	v_mul_f64_e32 v[24:25], v[24:25], v[66:67]
	global_load_b128 v[66:69], v70, s[0:1] offset:5008
	v_fma_f64 v[44:45], v[26:27], v[64:65], v[24:25]
	ds_load_b128 v[24:27], v162 offset:14560
	s_wait_loadcnt_dscnt 0x0
	v_mul_f64_e32 v[64:65], v[26:27], v[68:69]
	scratch_store_b128 off, v[66:69], off offset:576 ; 16-byte Folded Spill
	v_fma_f64 v[64:65], v[24:25], v[66:67], -v[64:65]
	v_mul_f64_e32 v[24:25], v[24:25], v[68:69]
	s_delay_alu instid0(VALU_DEP_1) | instskip(SKIP_3) | instid1(VALU_DEP_1)
	v_fma_f64 v[66:67], v[26:27], v[66:67], v[24:25]
	ds_load_b128 v[24:27], v162 offset:19760
	s_wait_dscnt 0x0
	v_mul_f64_e32 v[68:69], v[26:27], v[73:74]
	v_fma_f64 v[68:69], v[24:25], v[71:72], -v[68:69]
	v_mul_f64_e32 v[24:25], v[24:25], v[73:74]
	s_delay_alu instid0(VALU_DEP_1)
	v_fma_f64 v[92:93], v[26:27], v[71:72], v[24:25]
	global_load_b128 v[72:75], v70, s[0:1] offset:5040
	ds_load_b128 v[24:27], v162 offset:24960
	s_add_nc_u64 s[0:1], s[12:13], 0x6590
	s_wait_loadcnt_dscnt 0x0
	v_mul_f64_e32 v[70:71], v[26:27], v[74:75]
	scratch_store_b128 off, v[72:75], off offset:560 ; 16-byte Folded Spill
	v_fma_f64 v[70:71], v[24:25], v[72:73], -v[70:71]
	v_mul_f64_e32 v[24:25], v[24:25], v[74:75]
	s_delay_alu instid0(VALU_DEP_2) | instskip(NEXT) | instid1(VALU_DEP_2)
	v_add_f64_e64 v[143:144], v[46:47], -v[70:71]
	v_fma_f64 v[94:95], v[26:27], v[72:73], v[24:25]
	v_add_f64_e64 v[24:25], v[28:29], -v[36:37]
	v_add_f64_e64 v[26:27], v[56:57], -v[52:53]
	v_add_f64_e32 v[72:73], v[36:37], v[52:53]
	s_delay_alu instid0(VALU_DEP_2) | instskip(SKIP_2) | instid1(VALU_DEP_1)
	v_add_f64_e32 v[76:77], v[24:25], v[26:27]
	v_add_f64_e64 v[24:25], v[30:31], -v[38:39]
	v_add_f64_e64 v[26:27], v[58:59], -v[54:55]
	v_add_f64_e32 v[78:79], v[24:25], v[26:27]
	ds_load_b128 v[24:27], v162
	s_wait_dscnt 0x0
	v_fma_f64 v[80:81], v[72:73], -0.5, v[24:25]
	v_add_f64_e32 v[72:73], v[38:39], v[54:55]
	s_delay_alu instid0(VALU_DEP_1) | instskip(NEXT) | instid1(VALU_DEP_3)
	v_fma_f64 v[82:83], v[72:73], -0.5, v[26:27]
	v_fma_f64 v[72:73], v[84:85], s[2:3], v[80:81]
	v_fma_f64 v[80:81], v[84:85], s[8:9], v[80:81]
	s_delay_alu instid0(VALU_DEP_3) | instskip(NEXT) | instid1(VALU_DEP_3)
	v_fma_f64 v[74:75], v[88:89], s[8:9], v[82:83]
	v_fma_f64 v[72:73], v[86:87], s[14:15], v[72:73]
	s_delay_alu instid0(VALU_DEP_3) | instskip(SKIP_1) | instid1(VALU_DEP_4)
	v_fma_f64 v[80:81], v[86:87], s[16:17], v[80:81]
	v_fma_f64 v[82:83], v[88:89], s[2:3], v[82:83]
	;; [unrolled: 1-line block ×3, first 2 shown]
	s_delay_alu instid0(VALU_DEP_4) | instskip(NEXT) | instid1(VALU_DEP_4)
	v_fma_f64 v[72:73], v[76:77], s[18:19], v[72:73]
	v_fma_f64 v[76:77], v[76:77], s[18:19], v[80:81]
	v_add_f64_e32 v[80:81], v[28:29], v[56:57]
	v_fma_f64 v[82:83], v[90:91], s[14:15], v[82:83]
	v_fma_f64 v[74:75], v[78:79], s[18:19], v[74:75]
	s_delay_alu instid0(VALU_DEP_3) | instskip(SKIP_4) | instid1(VALU_DEP_4)
	v_fma_f64 v[96:97], v[80:81], -0.5, v[24:25]
	v_add_f64_e32 v[80:81], v[30:31], v[58:59]
	v_add_f64_e32 v[24:25], v[24:25], v[28:29]
	v_fma_f64 v[78:79], v[78:79], s[18:19], v[82:83]
	v_add_f64_e64 v[28:29], v[36:37], -v[28:29]
	v_fma_f64 v[98:99], v[80:81], -0.5, v[26:27]
	v_add_f64_e32 v[26:27], v[26:27], v[30:31]
	v_add_f64_e32 v[24:25], v[24:25], v[36:37]
	v_add_f64_e64 v[30:31], v[38:39], -v[30:31]
	v_add_f64_e64 v[36:37], v[52:53], -v[56:57]
	s_delay_alu instid0(VALU_DEP_4) | instskip(NEXT) | instid1(VALU_DEP_4)
	v_add_f64_e32 v[26:27], v[26:27], v[38:39]
	v_add_f64_e32 v[24:25], v[24:25], v[52:53]
	v_fma_f64 v[38:39], v[86:87], s[2:3], v[96:97]
	v_fma_f64 v[52:53], v[90:91], s[2:3], v[98:99]
	v_add_f64_e32 v[28:29], v[28:29], v[36:37]
	v_add_f64_e32 v[26:27], v[26:27], v[54:55]
	;; [unrolled: 1-line block ×3, first 2 shown]
	v_add_f64_e64 v[24:25], v[54:55], -v[58:59]
	v_fma_f64 v[54:55], v[90:91], s[8:9], v[98:99]
	v_fma_f64 v[36:37], v[88:89], s[16:17], v[52:53]
	v_add_f64_e64 v[52:53], v[62:63], -v[114:115]
	v_add_f64_e32 v[82:83], v[26:27], v[58:59]
	v_fma_f64 v[26:27], v[86:87], s[8:9], v[96:97]
	v_add_f64_e32 v[24:25], v[30:31], v[24:25]
	v_fma_f64 v[30:31], v[84:85], s[16:17], v[38:39]
	v_fma_f64 v[38:39], v[88:89], s[14:15], v[54:55]
	v_add_f64_e64 v[58:59], v[60:61], -v[112:113]
	v_add_f64_e64 v[54:55], v[106:107], -v[110:111]
	v_fma_f64 v[26:27], v[84:85], s[14:15], v[26:27]
	v_fma_f64 v[90:91], v[24:25], s[18:19], v[36:37]
	;; [unrolled: 1-line block ×4, first 2 shown]
	v_add_f64_e64 v[24:25], v[60:61], -v[104:105]
	v_add_f64_e32 v[36:37], v[104:105], v[108:109]
	v_add_f64_e32 v[38:39], v[106:107], v[110:111]
	v_fma_f64 v[88:89], v[28:29], s[18:19], v[26:27]
	v_add_f64_e64 v[26:27], v[112:113], -v[108:109]
	s_delay_alu instid0(VALU_DEP_1) | instskip(SKIP_2) | instid1(VALU_DEP_1)
	v_add_f64_e32 v[28:29], v[24:25], v[26:27]
	v_add_f64_e64 v[24:25], v[62:63], -v[106:107]
	v_add_f64_e64 v[26:27], v[114:115], -v[110:111]
	v_add_f64_e32 v[30:31], v[24:25], v[26:27]
	ds_load_b128 v[24:27], v162 offset:1040
	s_wait_dscnt 0x0
	v_fma_f64 v[36:37], v[36:37], -0.5, v[24:25]
	v_fma_f64 v[38:39], v[38:39], -0.5, v[26:27]
	s_delay_alu instid0(VALU_DEP_2) | instskip(NEXT) | instid1(VALU_DEP_2)
	v_fma_f64 v[56:57], v[52:53], s[2:3], v[36:37]
	v_fma_f64 v[96:97], v[58:59], s[8:9], v[38:39]
	;; [unrolled: 1-line block ×4, first 2 shown]
	s_delay_alu instid0(VALU_DEP_4) | instskip(NEXT) | instid1(VALU_DEP_4)
	v_fma_f64 v[56:57], v[54:55], s[14:15], v[56:57]
	v_fma_f64 v[98:99], v[116:117], s[16:17], v[96:97]
	s_delay_alu instid0(VALU_DEP_4) | instskip(NEXT) | instid1(VALU_DEP_4)
	v_fma_f64 v[36:37], v[54:55], s[16:17], v[36:37]
	v_fma_f64 v[38:39], v[116:117], s[14:15], v[38:39]
	;; [unrolled: 3-line block ×4, first 2 shown]
	v_add_f64_e32 v[28:29], v[60:61], v[112:113]
	v_add_f64_e32 v[30:31], v[62:63], v[114:115]
	v_add_f64_e64 v[36:37], v[104:105], -v[60:61]
	v_add_f64_e64 v[38:39], v[106:107], -v[62:63]
	;; [unrolled: 1-line block ×3, first 2 shown]
	v_fma_f64 v[28:29], v[28:29], -0.5, v[24:25]
	v_fma_f64 v[30:31], v[30:31], -0.5, v[26:27]
	v_add_f64_e32 v[24:25], v[24:25], v[60:61]
	v_add_f64_e32 v[26:27], v[26:27], v[62:63]
	;; [unrolled: 1-line block ×3, first 2 shown]
	v_add_f64_e64 v[60:61], v[125:126], -v[129:130]
	s_delay_alu instid0(VALU_DEP_4) | instskip(NEXT) | instid1(VALU_DEP_4)
	v_add_f64_e32 v[24:25], v[24:25], v[104:105]
	v_add_f64_e32 v[26:27], v[26:27], v[106:107]
	s_delay_alu instid0(VALU_DEP_2) | instskip(NEXT) | instid1(VALU_DEP_2)
	v_add_f64_e32 v[24:25], v[24:25], v[108:109]
	v_add_f64_e32 v[26:27], v[26:27], v[110:111]
	s_delay_alu instid0(VALU_DEP_2) | instskip(NEXT) | instid1(VALU_DEP_2)
	v_add_f64_e32 v[104:105], v[24:25], v[112:113]
	v_add_f64_e32 v[106:107], v[26:27], v[114:115]
	v_add_f64_e64 v[24:25], v[110:111], -v[114:115]
	v_fma_f64 v[26:27], v[54:55], s[8:9], v[28:29]
	v_fma_f64 v[28:29], v[54:55], s[2:3], v[28:29]
	v_fma_f64 v[54:55], v[116:117], s[2:3], v[30:31]
	v_fma_f64 v[30:31], v[116:117], s[8:9], v[30:31]
	v_add_f64_e32 v[24:25], v[38:39], v[24:25]
	v_fma_f64 v[26:27], v[52:53], s[14:15], v[26:27]
	v_fma_f64 v[28:29], v[52:53], s[16:17], v[28:29]
	;; [unrolled: 1-line block ×4, first 2 shown]
	v_add_f64_e64 v[52:53], v[122:123], -v[135:136]
	v_add_f64_e64 v[58:59], v[120:121], -v[133:134]
	;; [unrolled: 1-line block ×3, first 2 shown]
	v_fma_f64 v[108:109], v[36:37], s[18:19], v[26:27]
	v_add_f64_e64 v[26:27], v[133:134], -v[129:130]
	v_fma_f64 v[110:111], v[24:25], s[18:19], v[38:39]
	v_fma_f64 v[114:115], v[24:25], s[18:19], v[30:31]
	v_add_f64_e64 v[24:25], v[120:121], -v[125:126]
	v_fma_f64 v[112:113], v[36:37], s[18:19], v[28:29]
	v_add_f64_e32 v[36:37], v[125:126], v[129:130]
	v_add_f64_e32 v[38:39], v[127:128], v[131:132]
	s_delay_alu instid0(VALU_DEP_4) | instskip(SKIP_2) | instid1(VALU_DEP_1)
	v_add_f64_e32 v[28:29], v[24:25], v[26:27]
	v_add_f64_e64 v[24:25], v[122:123], -v[127:128]
	v_add_f64_e64 v[26:27], v[135:136], -v[131:132]
	v_add_f64_e32 v[30:31], v[24:25], v[26:27]
	ds_load_b128 v[24:27], v162 offset:2080
	s_wait_dscnt 0x0
	v_fma_f64 v[36:37], v[36:37], -0.5, v[24:25]
	v_fma_f64 v[38:39], v[38:39], -0.5, v[26:27]
	s_delay_alu instid0(VALU_DEP_2) | instskip(NEXT) | instid1(VALU_DEP_2)
	v_fma_f64 v[56:57], v[52:53], s[2:3], v[36:37]
	v_fma_f64 v[62:63], v[58:59], s[8:9], v[38:39]
	;; [unrolled: 1-line block ×4, first 2 shown]
	s_delay_alu instid0(VALU_DEP_4) | instskip(NEXT) | instid1(VALU_DEP_4)
	v_fma_f64 v[56:57], v[54:55], s[14:15], v[56:57]
	v_fma_f64 v[62:63], v[60:61], s[16:17], v[62:63]
	s_delay_alu instid0(VALU_DEP_4) | instskip(NEXT) | instid1(VALU_DEP_4)
	v_fma_f64 v[36:37], v[54:55], s[16:17], v[36:37]
	v_fma_f64 v[38:39], v[60:61], s[14:15], v[38:39]
	;; [unrolled: 3-line block ×4, first 2 shown]
	v_add_f64_e32 v[36:37], v[120:121], v[133:134]
	v_add_f64_e32 v[38:39], v[122:123], v[135:136]
	v_add_f64_e64 v[56:57], v[125:126], -v[120:121]
	v_add_f64_e64 v[62:63], v[127:128], -v[122:123]
	s_delay_alu instid0(VALU_DEP_4) | instskip(NEXT) | instid1(VALU_DEP_4)
	v_fma_f64 v[36:37], v[36:37], -0.5, v[24:25]
	v_fma_f64 v[38:39], v[38:39], -0.5, v[26:27]
	v_add_f64_e32 v[24:25], v[24:25], v[120:121]
	v_add_f64_e32 v[26:27], v[26:27], v[122:123]
	s_delay_alu instid0(VALU_DEP_2) | instskip(NEXT) | instid1(VALU_DEP_2)
	v_add_f64_e32 v[24:25], v[24:25], v[125:126]
	v_add_f64_e32 v[26:27], v[26:27], v[127:128]
	v_add_f64_e64 v[125:126], v[129:130], -v[133:134]
	s_delay_alu instid0(VALU_DEP_3) | instskip(NEXT) | instid1(VALU_DEP_3)
	v_add_f64_e32 v[24:25], v[24:25], v[129:130]
	v_add_f64_e32 v[26:27], v[26:27], v[131:132]
	s_delay_alu instid0(VALU_DEP_3) | instskip(SKIP_1) | instid1(VALU_DEP_4)
	v_add_f64_e32 v[56:57], v[56:57], v[125:126]
	v_add_f64_e64 v[129:130], v[32:33], -v[139:140]
	v_add_f64_e32 v[120:121], v[24:25], v[133:134]
	s_delay_alu instid0(VALU_DEP_4)
	v_add_f64_e32 v[122:123], v[26:27], v[135:136]
	v_add_f64_e64 v[24:25], v[131:132], -v[135:136]
	v_fma_f64 v[26:27], v[54:55], s[8:9], v[36:37]
	v_fma_f64 v[36:37], v[54:55], s[2:3], v[36:37]
	;; [unrolled: 1-line block ×4, first 2 shown]
	v_add_f64_e64 v[133:134], v[34:35], -v[137:138]
	v_add_f64_e64 v[131:132], v[40:41], -v[42:43]
	;; [unrolled: 1-line block ×3, first 2 shown]
	v_add_f64_e32 v[60:61], v[62:63], v[24:25]
	v_fma_f64 v[24:25], v[52:53], s[14:15], v[26:27]
	v_fma_f64 v[26:27], v[52:53], s[16:17], v[36:37]
	;; [unrolled: 1-line block ×4, first 2 shown]
	ds_load_b128 v[52:55], v162 offset:3120
	v_fma_f64 v[125:126], v[56:57], s[18:19], v[24:25]
	v_fma_f64 v[24:25], v[56:57], s[18:19], v[26:27]
	;; [unrolled: 1-line block ×4, first 2 shown]
	v_add_f64_e64 v[36:37], v[34:35], -v[48:49]
	v_add_f64_e64 v[38:39], v[137:138], -v[50:51]
	s_delay_alu instid0(VALU_DEP_1) | instskip(SKIP_2) | instid1(VALU_DEP_1)
	v_add_f64_e32 v[56:57], v[36:37], v[38:39]
	v_add_f64_e64 v[36:37], v[32:33], -v[40:41]
	v_add_f64_e64 v[38:39], v[139:140], -v[42:43]
	v_add_f64_e32 v[58:59], v[36:37], v[38:39]
	v_add_f64_e32 v[36:37], v[48:49], v[50:51]
	s_wait_dscnt 0x0
	s_delay_alu instid0(VALU_DEP_1) | instskip(SKIP_1) | instid1(VALU_DEP_1)
	v_fma_f64 v[60:61], v[36:37], -0.5, v[52:53]
	v_add_f64_e32 v[36:37], v[40:41], v[42:43]
	v_fma_f64 v[62:63], v[36:37], -0.5, v[54:55]
	s_delay_alu instid0(VALU_DEP_3) | instskip(SKIP_1) | instid1(VALU_DEP_3)
	v_fma_f64 v[36:37], v[129:130], s[2:3], v[60:61]
	v_fma_f64 v[60:61], v[129:130], s[8:9], v[60:61]
	;; [unrolled: 1-line block ×4, first 2 shown]
	s_delay_alu instid0(VALU_DEP_4) | instskip(NEXT) | instid1(VALU_DEP_4)
	v_fma_f64 v[36:37], v[131:132], s[14:15], v[36:37]
	v_fma_f64 v[60:61], v[131:132], s[16:17], v[60:61]
	s_delay_alu instid0(VALU_DEP_4) | instskip(NEXT) | instid1(VALU_DEP_4)
	v_fma_f64 v[38:39], v[135:136], s[16:17], v[38:39]
	v_fma_f64 v[62:63], v[135:136], s[14:15], v[62:63]
	;; [unrolled: 3-line block ×3, first 2 shown]
	v_add_f64_e32 v[56:57], v[34:35], v[137:138]
	v_fma_f64 v[38:39], v[58:59], s[18:19], v[38:39]
	v_fma_f64 v[62:63], v[58:59], s[18:19], v[62:63]
	v_add_f64_e32 v[58:59], v[32:33], v[139:140]
	s_delay_alu instid0(VALU_DEP_4) | instskip(SKIP_1) | instid1(VALU_DEP_3)
	v_fma_f64 v[56:57], v[56:57], -0.5, v[52:53]
	v_add_f64_e32 v[52:53], v[52:53], v[34:35]
	v_fma_f64 v[58:59], v[58:59], -0.5, v[54:55]
	v_add_f64_e32 v[54:55], v[54:55], v[32:33]
	s_delay_alu instid0(VALU_DEP_3) | instskip(SKIP_1) | instid1(VALU_DEP_3)
	v_add_f64_e32 v[34:35], v[52:53], v[48:49]
	v_fma_f64 v[52:53], v[131:132], s[2:3], v[56:57]
	v_add_f64_e32 v[48:49], v[54:55], v[40:41]
	v_add_f64_e64 v[40:41], v[40:41], -v[32:33]
	s_delay_alu instid0(VALU_DEP_4) | instskip(SKIP_1) | instid1(VALU_DEP_4)
	v_add_f64_e32 v[32:33], v[34:35], v[50:51]
	v_fma_f64 v[54:55], v[135:136], s[2:3], v[58:59]
	v_add_f64_e32 v[34:35], v[48:49], v[42:43]
	v_add_f64_e64 v[48:49], v[50:51], -v[137:138]
	v_add_f64_e64 v[42:43], v[42:43], -v[139:140]
	v_fma_f64 v[50:51], v[131:132], s[8:9], v[56:57]
	v_fma_f64 v[56:57], v[135:136], s[8:9], v[58:59]
	v_add_f64_e32 v[32:33], v[32:33], v[137:138]
	v_add_f64_e64 v[137:138], v[66:67], -v[92:93]
	v_add_f64_e32 v[34:35], v[34:35], v[139:140]
	v_add_f64_e32 v[48:49], v[141:142], v[48:49]
	;; [unrolled: 1-line block ×3, first 2 shown]
	v_fma_f64 v[40:41], v[129:130], s[14:15], v[50:51]
	v_fma_f64 v[50:51], v[129:130], s[16:17], v[52:53]
	v_fma_f64 v[42:43], v[133:134], s[16:17], v[54:55]
	v_fma_f64 v[54:55], v[133:134], s[14:15], v[56:57]
	v_add_f64_e64 v[56:57], v[92:93], -v[94:95]
	ds_load_b128 v[129:132], v162 offset:4160
	v_add_f64_e64 v[141:142], v[64:65], -v[68:69]
	v_add_f64_e64 v[139:140], v[44:45], -v[94:95]
	v_fma_f64 v[40:41], v[48:49], s[18:19], v[40:41]
	v_fma_f64 v[52:53], v[48:49], s[18:19], v[50:51]
	v_add_f64_e64 v[48:49], v[64:65], -v[46:47]
	v_add_f64_e64 v[50:51], v[68:69], -v[70:71]
	v_fma_f64 v[42:43], v[58:59], s[18:19], v[42:43]
	v_fma_f64 v[54:55], v[58:59], s[18:19], v[54:55]
	s_delay_alu instid0(VALU_DEP_3) | instskip(SKIP_1) | instid1(VALU_DEP_1)
	v_add_f64_e32 v[48:49], v[48:49], v[50:51]
	v_add_f64_e64 v[50:51], v[66:67], -v[44:45]
	v_add_f64_e32 v[50:51], v[50:51], v[56:57]
	v_add_f64_e32 v[56:57], v[46:47], v[70:71]
	s_wait_dscnt 0x0
	s_delay_alu instid0(VALU_DEP_1) | instskip(SKIP_1) | instid1(VALU_DEP_1)
	v_fma_f64 v[133:134], v[56:57], -0.5, v[129:130]
	v_add_f64_e32 v[56:57], v[44:45], v[94:95]
	v_fma_f64 v[135:136], v[56:57], -0.5, v[131:132]
	s_delay_alu instid0(VALU_DEP_3) | instskip(SKIP_1) | instid1(VALU_DEP_3)
	v_fma_f64 v[56:57], v[137:138], s[8:9], v[133:134]
	v_fma_f64 v[133:134], v[137:138], s[2:3], v[133:134]
	;; [unrolled: 1-line block ×4, first 2 shown]
	s_delay_alu instid0(VALU_DEP_4) | instskip(NEXT) | instid1(VALU_DEP_4)
	v_fma_f64 v[56:57], v[139:140], s[14:15], v[56:57]
	v_fma_f64 v[133:134], v[139:140], s[16:17], v[133:134]
	s_delay_alu instid0(VALU_DEP_4) | instskip(NEXT) | instid1(VALU_DEP_4)
	v_fma_f64 v[58:59], v[143:144], s[16:17], v[58:59]
	v_fma_f64 v[135:136], v[143:144], s[14:15], v[135:136]
	;; [unrolled: 3-line block ×3, first 2 shown]
	v_add_f64_e32 v[133:134], v[64:65], v[68:69]
	v_fma_f64 v[58:59], v[50:51], s[18:19], v[58:59]
	v_fma_f64 v[50:51], v[50:51], s[18:19], v[135:136]
	v_add_f64_e32 v[135:136], v[66:67], v[92:93]
	s_delay_alu instid0(VALU_DEP_4) | instskip(SKIP_2) | instid1(VALU_DEP_4)
	v_fma_f64 v[133:134], v[133:134], -0.5, v[129:130]
	v_add_f64_e32 v[129:130], v[129:130], v[46:47]
	v_add_f64_e64 v[46:47], v[46:47], -v[64:65]
	v_fma_f64 v[135:136], v[135:136], -0.5, v[131:132]
	v_add_f64_e32 v[131:132], v[131:132], v[44:45]
	v_add_f64_e64 v[44:45], v[44:45], -v[66:67]
	v_add_f64_e32 v[64:65], v[129:130], v[64:65]
	s_delay_alu instid0(VALU_DEP_3) | instskip(SKIP_1) | instid1(VALU_DEP_3)
	v_add_f64_e32 v[129:130], v[131:132], v[66:67]
	v_fma_f64 v[131:132], v[143:144], s[2:3], v[135:136]
	v_add_f64_e32 v[64:65], v[64:65], v[68:69]
	s_delay_alu instid0(VALU_DEP_3) | instskip(SKIP_1) | instid1(VALU_DEP_3)
	v_add_f64_e32 v[66:67], v[129:130], v[92:93]
	v_add_f64_e64 v[129:130], v[70:71], -v[68:69]
	v_add_f64_e32 v[68:69], v[64:65], v[70:71]
	v_add_f64_e64 v[64:65], v[94:95], -v[92:93]
	v_fma_f64 v[92:93], v[139:140], s[8:9], v[133:134]
	v_add_f64_e32 v[70:71], v[66:67], v[94:95]
	v_fma_f64 v[66:67], v[139:140], s[2:3], v[133:134]
	v_fma_f64 v[94:95], v[143:144], s[8:9], v[135:136]
	v_add_f64_e32 v[46:47], v[46:47], v[129:130]
	v_add_f64_e32 v[129:130], v[44:45], v[64:65]
	v_fma_f64 v[92:93], v[137:138], s[16:17], v[92:93]
	v_fma_f64 v[44:45], v[137:138], s[14:15], v[66:67]
	;; [unrolled: 1-line block ×4, first 2 shown]
	s_delay_alu instid0(VALU_DEP_3) | instskip(NEXT) | instid1(VALU_DEP_3)
	v_fma_f64 v[64:65], v[46:47], s[18:19], v[44:45]
	v_fma_f64 v[66:67], v[129:130], s[18:19], v[66:67]
	;; [unrolled: 1-line block ×3, first 2 shown]
	s_delay_alu instid0(VALU_DEP_4)
	v_fma_f64 v[46:47], v[129:130], s[18:19], v[94:95]
	ds_store_b128 v163, v[104:107] offset:1040
	ds_store_b128 v163, v[120:123] offset:2080
	ds_store_b128 v162, v[80:83]
	ds_store_b128 v163, v[72:75] offset:5200
	ds_store_b128 v163, v[96:99] offset:6240
	ds_store_b128 v163, v[88:91] offset:10400
	ds_store_b128 v163, v[108:111] offset:11440
	ds_store_b128 v163, v[84:87] offset:15600
	ds_store_b128 v163, v[112:115] offset:16640
	ds_store_b128 v163, v[76:79] offset:20800
	ds_store_b128 v163, v[100:103] offset:21840
	ds_store_b128 v162, v[116:119] offset:7280
	ds_store_b128 v162, v[125:128] offset:12480
	ds_store_b128 v162, v[24:27] offset:17680
	ds_store_b128 v162, v[28:31] offset:22880
	ds_store_b128 v163, v[32:35] offset:3120
	ds_store_b128 v162, v[36:39] offset:8320
	ds_store_b128 v162, v[40:43] offset:13520
	ds_store_b128 v162, v[52:55] offset:18720
	ds_store_b128 v162, v[60:63] offset:23920
	ds_store_b128 v163, v[68:71] offset:4160
	ds_store_b128 v162, v[64:67] offset:9360
	ds_store_b128 v162, v[56:59] offset:14560
	ds_store_b128 v162, v[48:51] offset:19760
	ds_store_b128 v162, v[44:47] offset:24960
	global_wb scope:SCOPE_SE
	s_wait_storecnt_dscnt 0x0
	s_barrier_signal -1
	s_barrier_wait -1
	global_inv scope:SCOPE_SE
	scratch_load_b64 v[72:73], off, off     ; 8-byte Folded Reload
	ds_load_b128 v[76:79], v162
	ds_load_b128 v[88:91], v162 offset:4000
	ds_load_b128 v[100:103], v162 offset:8000
	;; [unrolled: 1-line block ×11, first 2 shown]
	s_wait_loadcnt 0x0
	global_load_b128 v[72:75], v[72:73], off offset:26000
	s_wait_loadcnt_dscnt 0xb
	v_mul_f64_e32 v[80:81], v[78:79], v[74:75]
	v_mul_f64_e32 v[82:83], v[76:77], v[74:75]
	s_delay_alu instid0(VALU_DEP_2) | instskip(NEXT) | instid1(VALU_DEP_2)
	v_fma_f64 v[74:75], v[76:77], v[72:73], -v[80:81]
	v_fma_f64 v[76:77], v[78:79], v[72:73], v[82:83]
	global_load_b128 v[78:81], v124, s[0:1] offset:2000
	ds_load_b128 v[82:85], v162 offset:2000
	s_wait_loadcnt_dscnt 0x0
	v_mul_f64_e32 v[72:73], v[84:85], v[80:81]
	v_mul_f64_e32 v[86:87], v[82:83], v[80:81]
	s_delay_alu instid0(VALU_DEP_2) | instskip(NEXT) | instid1(VALU_DEP_2)
	v_fma_f64 v[80:81], v[82:83], v[78:79], -v[72:73]
	v_fma_f64 v[82:83], v[84:85], v[78:79], v[86:87]
	global_load_b128 v[84:87], v124, s[0:1] offset:4000
	s_wait_loadcnt 0x0
	v_mul_f64_e32 v[72:73], v[90:91], v[86:87]
	v_mul_f64_e32 v[78:79], v[88:89], v[86:87]
	s_delay_alu instid0(VALU_DEP_2) | instskip(NEXT) | instid1(VALU_DEP_2)
	v_fma_f64 v[86:87], v[88:89], v[84:85], -v[72:73]
	v_fma_f64 v[88:89], v[90:91], v[84:85], v[78:79]
	global_load_b128 v[90:93], v124, s[0:1] offset:6000
	s_wait_loadcnt 0x0
	;; [unrolled: 7-line block ×11, first 2 shown]
	v_mul_f64_e32 v[72:73], v[143:144], v[122:123]
	v_mul_f64_e32 v[78:79], v[141:142], v[122:123]
	s_delay_alu instid0(VALU_DEP_2) | instskip(NEXT) | instid1(VALU_DEP_2)
	v_fma_f64 v[141:142], v[141:142], v[120:121], -v[72:73]
	v_fma_f64 v[143:144], v[143:144], v[120:121], v[78:79]
	ds_store_b128 v162, v[74:77]
	ds_store_b128 v162, v[80:83] offset:2000
	ds_store_b128 v162, v[86:89] offset:4000
	;; [unrolled: 1-line block ×12, first 2 shown]
	s_and_saveexec_b32 s2, vcc_lo
	s_cbranch_execz .LBB0_9
; %bb.8:
	s_wait_alu 0xfffe
	v_add_co_u32 v120, s0, s0, v124
	s_wait_alu 0xf1ff
	v_add_co_ci_u32_e64 v121, null, s1, 0, s0
	s_clause 0x6
	global_load_b128 v[72:75], v[120:121], off offset:1040
	global_load_b128 v[76:79], v[120:121], off offset:3040
	;; [unrolled: 1-line block ×7, first 2 shown]
	ds_load_b128 v[100:103], v163 offset:1040
	global_load_b128 v[104:107], v[120:121], off offset:15040
	s_wait_loadcnt_dscnt 0x700
	v_mul_f64_e32 v[108:109], v[102:103], v[74:75]
	v_mul_f64_e32 v[74:75], v[100:101], v[74:75]
	s_delay_alu instid0(VALU_DEP_2) | instskip(NEXT) | instid1(VALU_DEP_2)
	v_fma_f64 v[100:101], v[100:101], v[72:73], -v[108:109]
	v_fma_f64 v[102:103], v[102:103], v[72:73], v[74:75]
	global_load_b128 v[72:75], v[120:121], off offset:17040
	ds_store_b128 v163, v[100:103] offset:1040
	ds_load_b128 v[100:103], v162 offset:3040
	ds_load_b128 v[108:111], v162 offset:5040
	;; [unrolled: 1-line block ×3, first 2 shown]
	s_wait_loadcnt_dscnt 0x702
	v_mul_f64_e32 v[116:117], v[102:103], v[78:79]
	v_mul_f64_e32 v[78:79], v[100:101], v[78:79]
	s_wait_loadcnt_dscnt 0x601
	v_mul_f64_e32 v[118:119], v[110:111], v[82:83]
	v_mul_f64_e32 v[82:83], v[108:109], v[82:83]
	s_delay_alu instid0(VALU_DEP_4) | instskip(NEXT) | instid1(VALU_DEP_4)
	v_fma_f64 v[100:101], v[100:101], v[76:77], -v[116:117]
	v_fma_f64 v[102:103], v[102:103], v[76:77], v[78:79]
	global_load_b128 v[76:79], v[120:121], off offset:19040
	v_fma_f64 v[108:109], v[108:109], v[80:81], -v[118:119]
	v_fma_f64 v[110:111], v[110:111], v[80:81], v[82:83]
	ds_load_b128 v[80:83], v162 offset:9040
	s_wait_loadcnt_dscnt 0x601
	v_mul_f64_e32 v[116:117], v[114:115], v[86:87]
	v_mul_f64_e32 v[86:87], v[112:113], v[86:87]
	s_wait_loadcnt_dscnt 0x500
	v_mul_f64_e32 v[122:123], v[82:83], v[90:91]
	v_mul_f64_e32 v[90:91], v[80:81], v[90:91]
	s_delay_alu instid0(VALU_DEP_4)
	v_fma_f64 v[112:113], v[112:113], v[84:85], -v[116:117]
	global_load_b128 v[116:119], v[120:121], off offset:21040
	v_fma_f64 v[114:115], v[114:115], v[84:85], v[86:87]
	ds_load_b128 v[84:87], v162 offset:11040
	v_fma_f64 v[80:81], v[80:81], v[88:89], -v[122:123]
	v_fma_f64 v[82:83], v[82:83], v[88:89], v[90:91]
	s_clause 0x1
	global_load_b128 v[88:91], v[120:121], off offset:23040
	global_load_b128 v[120:123], v[120:121], off offset:25040
	s_wait_loadcnt_dscnt 0x700
	v_mul_f64_e32 v[124:125], v[86:87], v[94:95]
	v_mul_f64_e32 v[94:95], v[84:85], v[94:95]
	s_delay_alu instid0(VALU_DEP_2) | instskip(NEXT) | instid1(VALU_DEP_2)
	v_fma_f64 v[84:85], v[84:85], v[92:93], -v[124:125]
	v_fma_f64 v[86:87], v[86:87], v[92:93], v[94:95]
	ds_load_b128 v[92:95], v162 offset:13040
	s_wait_loadcnt_dscnt 0x600
	v_mul_f64_e32 v[124:125], v[94:95], v[98:99]
	v_mul_f64_e32 v[98:99], v[92:93], v[98:99]
	s_delay_alu instid0(VALU_DEP_2) | instskip(NEXT) | instid1(VALU_DEP_2)
	v_fma_f64 v[92:93], v[92:93], v[96:97], -v[124:125]
	v_fma_f64 v[94:95], v[94:95], v[96:97], v[98:99]
	ds_load_b128 v[96:99], v162 offset:15040
	s_wait_loadcnt_dscnt 0x500
	v_mul_f64_e32 v[124:125], v[98:99], v[106:107]
	v_mul_f64_e32 v[106:107], v[96:97], v[106:107]
	s_delay_alu instid0(VALU_DEP_2) | instskip(NEXT) | instid1(VALU_DEP_2)
	v_fma_f64 v[96:97], v[96:97], v[104:105], -v[124:125]
	v_fma_f64 v[98:99], v[98:99], v[104:105], v[106:107]
	ds_load_b128 v[104:107], v162 offset:17040
	s_wait_loadcnt_dscnt 0x400
	v_mul_f64_e32 v[124:125], v[106:107], v[74:75]
	v_mul_f64_e32 v[74:75], v[104:105], v[74:75]
	s_delay_alu instid0(VALU_DEP_2) | instskip(NEXT) | instid1(VALU_DEP_2)
	v_fma_f64 v[104:105], v[104:105], v[72:73], -v[124:125]
	v_fma_f64 v[106:107], v[106:107], v[72:73], v[74:75]
	ds_load_b128 v[72:75], v162 offset:19040
	s_wait_loadcnt_dscnt 0x300
	v_mul_f64_e32 v[124:125], v[74:75], v[78:79]
	v_mul_f64_e32 v[78:79], v[72:73], v[78:79]
	s_delay_alu instid0(VALU_DEP_2) | instskip(NEXT) | instid1(VALU_DEP_2)
	v_fma_f64 v[72:73], v[72:73], v[76:77], -v[124:125]
	v_fma_f64 v[74:75], v[74:75], v[76:77], v[78:79]
	ds_load_b128 v[76:79], v162 offset:21040
	s_wait_loadcnt_dscnt 0x200
	v_mul_f64_e32 v[124:125], v[78:79], v[118:119]
	v_mul_f64_e32 v[118:119], v[76:77], v[118:119]
	s_delay_alu instid0(VALU_DEP_2) | instskip(NEXT) | instid1(VALU_DEP_2)
	v_fma_f64 v[76:77], v[76:77], v[116:117], -v[124:125]
	v_fma_f64 v[78:79], v[78:79], v[116:117], v[118:119]
	ds_load_b128 v[116:119], v162 offset:23040
	s_wait_loadcnt_dscnt 0x100
	v_mul_f64_e32 v[124:125], v[118:119], v[90:91]
	v_mul_f64_e32 v[90:91], v[116:117], v[90:91]
	s_delay_alu instid0(VALU_DEP_2) | instskip(NEXT) | instid1(VALU_DEP_2)
	v_fma_f64 v[116:117], v[116:117], v[88:89], -v[124:125]
	v_fma_f64 v[118:119], v[118:119], v[88:89], v[90:91]
	ds_load_b128 v[88:91], v162 offset:25040
	s_wait_loadcnt_dscnt 0x0
	v_mul_f64_e32 v[124:125], v[90:91], v[122:123]
	v_mul_f64_e32 v[122:123], v[88:89], v[122:123]
	s_delay_alu instid0(VALU_DEP_2) | instskip(NEXT) | instid1(VALU_DEP_2)
	v_fma_f64 v[88:89], v[88:89], v[120:121], -v[124:125]
	v_fma_f64 v[90:91], v[90:91], v[120:121], v[122:123]
	ds_store_b128 v162, v[100:103] offset:3040
	ds_store_b128 v162, v[108:111] offset:5040
	;; [unrolled: 1-line block ×12, first 2 shown]
.LBB0_9:
	s_wait_alu 0xfffe
	s_or_b32 exec_lo, exec_lo, s2
	global_wb scope:SCOPE_SE
	s_wait_dscnt 0x0
	s_barrier_signal -1
	s_barrier_wait -1
	global_inv scope:SCOPE_SE
	ds_load_b128 v[72:75], v162
	ds_load_b128 v[76:79], v162 offset:2000
	ds_load_b128 v[80:83], v162 offset:4000
	;; [unrolled: 1-line block ×12, first 2 shown]
	s_and_saveexec_b32 s0, vcc_lo
	s_cbranch_execz .LBB0_11
; %bb.10:
	ds_load_b128 v[24:27], v163 offset:1040
	ds_load_b128 v[28:31], v163 offset:3040
	;; [unrolled: 1-line block ×13, first 2 shown]
	s_wait_dscnt 0x0
	scratch_store_b128 off, v[124:127], off offset:8 ; 16-byte Folded Spill
.LBB0_11:
	s_wait_alu 0xfffe
	s_or_b32 exec_lo, exec_lo, s0
	s_wait_dscnt 0xb
	v_add_f64_e32 v[124:125], v[72:73], v[76:77]
	v_add_f64_e32 v[126:127], v[74:75], v[78:79]
	s_wait_dscnt 0x2
	v_add_f64_e64 v[134:135], v[90:91], -v[98:99]
	s_wait_dscnt 0x1
	v_add_f64_e32 v[136:137], v[82:83], v[94:95]
	v_add_f64_e64 v[142:143], v[82:83], -v[94:95]
	s_mov_b32 s42, 0x4267c47c
	s_mov_b32 s24, 0x42a4c3d2
	;; [unrolled: 1-line block ×28, first 2 shown]
	s_wait_alu 0xfffe
	s_mov_b32 s28, s42
	s_mov_b32 s38, s24
	;; [unrolled: 1-line block ×5, first 2 shown]
	v_add_f64_e32 v[124:125], v[124:125], v[80:81]
	v_add_f64_e32 v[126:127], v[126:127], v[82:83]
	s_mov_b32 s41, 0x3fcea1e5
	s_mov_b32 s34, s18
	;; [unrolled: 1-line block ×3, first 2 shown]
	global_wb scope:SCOPE_SE
	s_wait_storecnt_dscnt 0x0
	s_barrier_signal -1
	s_barrier_wait -1
	global_inv scope:SCOPE_SE
	v_add_f64_e32 v[124:125], v[124:125], v[88:89]
	v_add_f64_e32 v[126:127], v[126:127], v[90:91]
	s_delay_alu instid0(VALU_DEP_2) | instskip(NEXT) | instid1(VALU_DEP_2)
	v_add_f64_e32 v[124:125], v[124:125], v[100:101]
	v_add_f64_e32 v[126:127], v[126:127], v[102:103]
	s_delay_alu instid0(VALU_DEP_2) | instskip(NEXT) | instid1(VALU_DEP_2)
	;; [unrolled: 3-line block ×3, first 2 shown]
	v_add_f64_e32 v[128:129], v[124:125], v[120:121]
	v_add_f64_e32 v[130:131], v[126:127], v[122:123]
	;; [unrolled: 1-line block ×3, first 2 shown]
	v_add_f64_e64 v[120:121], v[120:121], -v[116:117]
	v_add_f64_e32 v[126:127], v[122:123], v[118:119]
	v_add_f64_e64 v[122:123], v[122:123], -v[118:119]
	v_add_f64_e32 v[132:133], v[128:129], v[116:117]
	v_add_f64_e32 v[130:131], v[130:131], v[118:119]
	;; [unrolled: 1-line block ×3, first 2 shown]
	v_add_f64_e64 v[108:109], v[108:109], -v[112:113]
	v_add_f64_e32 v[118:119], v[110:111], v[114:115]
	v_add_f64_e64 v[128:129], v[110:111], -v[114:115]
	v_add_f64_e32 v[110:111], v[100:101], v[104:105]
	v_add_f64_e64 v[100:101], v[100:101], -v[104:105]
	v_mul_f64_e32 v[200:201], s[0:1], v[126:127]
	v_add_f64_e32 v[112:113], v[132:133], v[112:113]
	v_add_f64_e32 v[132:133], v[130:131], v[114:115]
	;; [unrolled: 1-line block ×3, first 2 shown]
	v_add_f64_e64 v[130:131], v[102:103], -v[106:107]
	v_add_f64_e32 v[102:103], v[88:89], v[96:97]
	v_add_f64_e64 v[88:89], v[88:89], -v[96:97]
	v_add_f64_e32 v[104:105], v[112:113], v[104:105]
	v_add_f64_e32 v[106:107], v[132:133], v[106:107]
	v_add_f64_e32 v[132:133], v[90:91], v[98:99]
	v_add_f64_e32 v[90:91], v[80:81], v[92:93]
	v_add_f64_e64 v[80:81], v[80:81], -v[92:93]
	v_add_f64_e32 v[96:97], v[104:105], v[96:97]
	v_add_f64_e32 v[98:99], v[106:107], v[98:99]
	v_add_f64_e64 v[104:105], v[76:77], -v[84:85]
	s_delay_alu instid0(VALU_DEP_3) | instskip(NEXT) | instid1(VALU_DEP_3)
	v_add_f64_e32 v[82:83], v[96:97], v[92:93]
	v_add_f64_e32 v[92:93], v[98:99], v[94:95]
	v_add_f64_e64 v[94:95], v[78:79], -v[86:87]
	v_add_f64_e32 v[96:97], v[76:77], v[84:85]
	v_add_f64_e32 v[98:99], v[78:79], v[86:87]
	v_add_f64_e32 v[76:77], v[82:83], v[84:85]
	v_add_f64_e32 v[78:79], v[92:93], v[86:87]
	v_mul_f64_e32 v[82:83], s[42:43], v[94:95]
	v_mul_f64_e32 v[84:85], s[24:25], v[94:95]
	;; [unrolled: 1-line block ×9, first 2 shown]
	v_fma_f64 v[112:113], v[96:97], s[26:27], v[82:83]
	v_fma_f64 v[82:83], v[96:97], s[26:27], -v[82:83]
	v_fma_f64 v[138:139], v[96:97], s[16:17], v[84:85]
	v_fma_f64 v[140:141], v[96:97], s[16:17], -v[84:85]
	;; [unrolled: 2-line block ×6, first 2 shown]
	v_mul_f64_e32 v[84:85], s[26:27], v[98:99]
	v_mul_f64_e32 v[96:97], s[16:17], v[98:99]
	;; [unrolled: 1-line block ×3, first 2 shown]
	s_wait_alu 0xfffe
	v_fma_f64 v[160:161], v[104:105], s[30:31], v[150:151]
	v_fma_f64 v[171:172], v[104:105], s[36:37], v[152:153]
	;; [unrolled: 1-line block ×6, first 2 shown]
	v_add_f64_e32 v[82:83], v[72:73], v[82:83]
	v_add_f64_e32 v[179:180], v[72:73], v[138:139]
	;; [unrolled: 1-line block ×5, first 2 shown]
	v_mul_f64_e32 v[86:87], s[24:25], v[142:143]
	v_add_f64_e32 v[196:197], v[72:73], v[146:147]
	v_add_f64_e32 v[140:141], v[72:73], v[94:95]
	v_fma_f64 v[156:157], v[104:105], s[28:29], v[84:85]
	v_fma_f64 v[158:159], v[104:105], s[38:39], v[96:97]
	;; [unrolled: 1-line block ×6, first 2 shown]
	v_add_f64_e32 v[104:105], v[72:73], v[112:113]
	v_add_f64_e32 v[189:190], v[74:75], v[160:161]
	;; [unrolled: 1-line block ×3, first 2 shown]
	v_mul_f64_e32 v[94:95], s[22:23], v[134:135]
	v_mul_f64_e32 v[92:93], s[16:17], v[136:137]
	v_add_f64_e32 v[194:195], v[74:75], v[150:151]
	v_add_f64_e32 v[198:199], v[74:75], v[171:172]
	;; [unrolled: 1-line block ×4, first 2 shown]
	v_mul_f64_e32 v[173:174], s[20:21], v[142:143]
	v_mul_f64_e32 v[175:176], s[8:9], v[136:137]
	v_add_f64_e32 v[112:113], v[74:75], v[156:157]
	v_add_f64_e32 v[181:182], v[74:75], v[158:159]
	;; [unrolled: 1-line block ×6, first 2 shown]
	v_fma_f64 v[72:73], v[90:91], s[16:17], v[86:87]
	v_add_f64_e32 v[185:186], v[74:75], v[96:97]
	v_add_f64_e32 v[84:85], v[74:75], v[84:85]
	v_fma_f64 v[96:97], v[102:103], s[12:13], v[94:95]
	v_add_f64_e32 v[146:147], v[74:75], v[177:178]
	v_add_f64_e32 v[138:139], v[74:75], v[98:99]
	v_fma_f64 v[74:75], v[80:81], s[38:39], v[92:93]
	v_mul_f64_e32 v[177:178], s[14:15], v[134:135]
	v_fma_f64 v[86:87], v[90:91], s[16:17], -v[86:87]
	v_fma_f64 v[171:172], v[80:81], s[36:37], v[175:176]
	v_fma_f64 v[175:176], v[80:81], s[20:21], v[175:176]
	v_add_f64_e32 v[72:73], v[72:73], v[104:105]
	v_add_f64_e32 v[74:75], v[74:75], v[112:113]
	;; [unrolled: 1-line block ×5, first 2 shown]
	v_mul_f64_e32 v[185:186], s[36:37], v[134:135]
	v_add_f64_e32 v[72:73], v[96:97], v[72:73]
	v_mul_f64_e32 v[96:97], s[12:13], v[132:133]
	s_delay_alu instid0(VALU_DEP_1) | instskip(SKIP_3) | instid1(VALU_DEP_4)
	v_fma_f64 v[98:99], v[88:89], s[30:31], v[96:97]
	v_fma_f64 v[86:87], v[88:89], s[22:23], v[96:97]
	v_add_nc_u32_e32 v97, 0xc30, v162
	v_add_nc_u32_e32 v96, 0x1040, v162
	v_add_f64_e32 v[74:75], v[98:99], v[74:75]
	v_mul_f64_e32 v[98:99], s[20:21], v[130:131]
	s_delay_alu instid0(VALU_DEP_1) | instskip(NEXT) | instid1(VALU_DEP_1)
	v_fma_f64 v[104:105], v[110:111], s[8:9], v[98:99]
	v_add_f64_e32 v[72:73], v[104:105], v[72:73]
	v_mul_f64_e32 v[104:105], s[8:9], v[114:115]
	s_delay_alu instid0(VALU_DEP_1) | instskip(NEXT) | instid1(VALU_DEP_1)
	v_fma_f64 v[106:107], v[100:101], s[36:37], v[104:105]
	;; [unrolled: 4-line block ×5, first 2 shown]
	v_add_f64_e32 v[72:73], v[169:170], v[72:73]
	v_fma_f64 v[169:170], v[120:121], s[40:41], v[200:201]
	s_delay_alu instid0(VALU_DEP_1) | instskip(SKIP_2) | instid1(VALU_DEP_2)
	v_add_f64_e32 v[74:75], v[169:170], v[74:75]
	v_fma_f64 v[169:170], v[90:91], s[8:9], v[173:174]
	v_fma_f64 v[173:174], v[90:91], s[8:9], -v[173:174]
	v_add_f64_e32 v[169:170], v[169:170], v[179:180]
	v_fma_f64 v[179:180], v[102:103], s[0:1], v[177:178]
	s_delay_alu instid0(VALU_DEP_3) | instskip(SKIP_2) | instid1(VALU_DEP_4)
	v_add_f64_e32 v[173:174], v[173:174], v[183:184]
	v_fma_f64 v[177:178], v[102:103], s[0:1], -v[177:178]
	v_mul_f64_e32 v[183:184], s[0:1], v[136:137]
	v_add_f64_e32 v[169:170], v[179:180], v[169:170]
	v_mul_f64_e32 v[179:180], s[0:1], v[132:133]
	s_delay_alu instid0(VALU_DEP_4) | instskip(NEXT) | instid1(VALU_DEP_2)
	v_add_f64_e32 v[173:174], v[177:178], v[173:174]
	v_fma_f64 v[181:182], v[88:89], s[40:41], v[179:180]
	v_fma_f64 v[177:178], v[88:89], s[14:15], v[179:180]
	s_delay_alu instid0(VALU_DEP_2) | instskip(SKIP_1) | instid1(VALU_DEP_3)
	v_add_f64_e32 v[171:172], v[181:182], v[171:172]
	v_mul_f64_e32 v[181:182], s[34:35], v[130:131]
	v_add_f64_e32 v[175:176], v[177:178], v[175:176]
	s_delay_alu instid0(VALU_DEP_2) | instskip(SKIP_2) | instid1(VALU_DEP_3)
	v_fma_f64 v[202:203], v[110:111], s[2:3], v[181:182]
	v_fma_f64 v[177:178], v[110:111], s[2:3], -v[181:182]
	v_mul_f64_e32 v[181:182], s[14:15], v[142:143]
	v_add_f64_e32 v[169:170], v[202:203], v[169:170]
	v_mul_f64_e32 v[202:203], s[2:3], v[114:115]
	s_delay_alu instid0(VALU_DEP_4) | instskip(NEXT) | instid1(VALU_DEP_2)
	v_add_f64_e32 v[173:174], v[177:178], v[173:174]
	v_fma_f64 v[204:205], v[100:101], s[18:19], v[202:203]
	v_fma_f64 v[177:178], v[100:101], s[34:35], v[202:203]
	s_delay_alu instid0(VALU_DEP_2) | instskip(SKIP_1) | instid1(VALU_DEP_3)
	v_add_f64_e32 v[171:172], v[204:205], v[171:172]
	v_mul_f64_e32 v[204:205], s[30:31], v[128:129]
	v_add_f64_e32 v[175:176], v[177:178], v[175:176]
	s_delay_alu instid0(VALU_DEP_2) | instskip(SKIP_1) | instid1(VALU_DEP_2)
	v_fma_f64 v[206:207], v[116:117], s[12:13], v[204:205]
	v_fma_f64 v[177:178], v[116:117], s[12:13], -v[204:205]
	v_add_f64_e32 v[169:170], v[206:207], v[169:170]
	v_mul_f64_e32 v[206:207], s[12:13], v[118:119]
	s_delay_alu instid0(VALU_DEP_3) | instskip(NEXT) | instid1(VALU_DEP_2)
	v_add_f64_e32 v[173:174], v[177:178], v[173:174]
	v_fma_f64 v[208:209], v[108:109], s[22:23], v[206:207]
	v_fma_f64 v[177:178], v[108:109], s[30:31], v[206:207]
	s_delay_alu instid0(VALU_DEP_2) | instskip(SKIP_1) | instid1(VALU_DEP_3)
	v_add_f64_e32 v[171:172], v[208:209], v[171:172]
	v_mul_f64_e32 v[208:209], s[28:29], v[122:123]
	v_add_f64_e32 v[175:176], v[177:178], v[175:176]
	s_delay_alu instid0(VALU_DEP_2) | instskip(SKIP_1) | instid1(VALU_DEP_2)
	v_fma_f64 v[210:211], v[124:125], s[26:27], v[208:209]
	v_fma_f64 v[177:178], v[124:125], s[26:27], -v[208:209]
	v_add_f64_e32 v[169:170], v[210:211], v[169:170]
	v_mul_f64_e32 v[210:211], s[26:27], v[126:127]
	s_delay_alu instid0(VALU_DEP_3) | instskip(SKIP_2) | instid1(VALU_DEP_4)
	v_add_f64_e32 v[173:174], v[177:178], v[173:174]
	v_fma_f64 v[177:178], v[90:91], s[0:1], v[181:182]
	v_fma_f64 v[181:182], v[90:91], s[0:1], -v[181:182]
	v_fma_f64 v[179:180], v[120:121], s[28:29], v[210:211]
	v_fma_f64 v[212:213], v[120:121], s[42:43], v[210:211]
	s_delay_alu instid0(VALU_DEP_4)
	v_add_f64_e32 v[177:178], v[177:178], v[187:188]
	v_fma_f64 v[187:188], v[102:103], s[8:9], v[185:186]
	v_add_f64_e32 v[181:182], v[181:182], v[191:192]
	v_fma_f64 v[185:186], v[102:103], s[8:9], -v[185:186]
	v_mul_f64_e32 v[191:192], s[2:3], v[136:137]
	v_add_f64_e32 v[175:176], v[179:180], v[175:176]
	v_fma_f64 v[179:180], v[80:81], s[40:41], v[183:184]
	v_fma_f64 v[183:184], v[80:81], s[14:15], v[183:184]
	v_add_f64_e32 v[177:178], v[187:188], v[177:178]
	v_mul_f64_e32 v[187:188], s[8:9], v[132:133]
	v_add_f64_e32 v[181:182], v[185:186], v[181:182]
	v_add_f64_e32 v[171:172], v[212:213], v[171:172]
	;; [unrolled: 1-line block ×4, first 2 shown]
	v_mul_f64_e32 v[194:195], s[28:29], v[134:135]
	v_fma_f64 v[189:190], v[88:89], s[20:21], v[187:188]
	v_fma_f64 v[185:186], v[88:89], s[36:37], v[187:188]
	s_delay_alu instid0(VALU_DEP_2) | instskip(SKIP_1) | instid1(VALU_DEP_3)
	v_add_f64_e32 v[179:180], v[189:190], v[179:180]
	v_mul_f64_e32 v[189:190], s[28:29], v[130:131]
	v_add_f64_e32 v[183:184], v[185:186], v[183:184]
	s_delay_alu instid0(VALU_DEP_2) | instskip(SKIP_2) | instid1(VALU_DEP_3)
	v_fma_f64 v[202:203], v[110:111], s[26:27], v[189:190]
	v_fma_f64 v[185:186], v[110:111], s[26:27], -v[189:190]
	v_mul_f64_e32 v[189:190], s[34:35], v[142:143]
	v_add_f64_e32 v[177:178], v[202:203], v[177:178]
	v_mul_f64_e32 v[202:203], s[26:27], v[114:115]
	s_delay_alu instid0(VALU_DEP_4) | instskip(NEXT) | instid1(VALU_DEP_2)
	v_add_f64_e32 v[181:182], v[185:186], v[181:182]
	v_fma_f64 v[204:205], v[100:101], s[42:43], v[202:203]
	v_fma_f64 v[185:186], v[100:101], s[28:29], v[202:203]
	s_delay_alu instid0(VALU_DEP_2) | instskip(SKIP_1) | instid1(VALU_DEP_3)
	v_add_f64_e32 v[179:180], v[204:205], v[179:180]
	v_mul_f64_e32 v[204:205], s[24:25], v[128:129]
	v_add_f64_e32 v[183:184], v[185:186], v[183:184]
	s_delay_alu instid0(VALU_DEP_2) | instskip(SKIP_1) | instid1(VALU_DEP_2)
	v_fma_f64 v[206:207], v[116:117], s[16:17], v[204:205]
	v_fma_f64 v[185:186], v[116:117], s[16:17], -v[204:205]
	v_add_f64_e32 v[177:178], v[206:207], v[177:178]
	v_mul_f64_e32 v[206:207], s[16:17], v[118:119]
	s_delay_alu instid0(VALU_DEP_3) | instskip(NEXT) | instid1(VALU_DEP_2)
	v_add_f64_e32 v[181:182], v[185:186], v[181:182]
	v_fma_f64 v[208:209], v[108:109], s[38:39], v[206:207]
	v_fma_f64 v[185:186], v[108:109], s[24:25], v[206:207]
	s_delay_alu instid0(VALU_DEP_2) | instskip(SKIP_1) | instid1(VALU_DEP_3)
	v_add_f64_e32 v[179:180], v[208:209], v[179:180]
	v_mul_f64_e32 v[208:209], s[18:19], v[122:123]
	v_add_f64_e32 v[183:184], v[185:186], v[183:184]
	s_delay_alu instid0(VALU_DEP_2) | instskip(SKIP_1) | instid1(VALU_DEP_2)
	v_fma_f64 v[210:211], v[124:125], s[2:3], v[208:209]
	v_fma_f64 v[185:186], v[124:125], s[2:3], -v[208:209]
	v_add_f64_e32 v[177:178], v[210:211], v[177:178]
	v_mul_f64_e32 v[210:211], s[2:3], v[126:127]
	s_delay_alu instid0(VALU_DEP_3) | instskip(SKIP_2) | instid1(VALU_DEP_4)
	v_add_f64_e32 v[181:182], v[185:186], v[181:182]
	v_fma_f64 v[185:186], v[90:91], s[2:3], v[189:190]
	v_fma_f64 v[189:190], v[90:91], s[2:3], -v[189:190]
	v_fma_f64 v[187:188], v[120:121], s[18:19], v[210:211]
	v_fma_f64 v[212:213], v[120:121], s[34:35], v[210:211]
	s_delay_alu instid0(VALU_DEP_4)
	v_add_f64_e32 v[185:186], v[185:186], v[196:197]
	v_fma_f64 v[196:197], v[102:103], s[26:27], v[194:195]
	v_add_f64_e32 v[160:161], v[189:190], v[160:161]
	v_fma_f64 v[189:190], v[80:81], s[34:35], v[191:192]
	;; [unrolled: 2-line block ×3, first 2 shown]
	v_add_f64_e32 v[179:180], v[212:213], v[179:180]
	v_add_f64_e32 v[185:186], v[196:197], v[185:186]
	v_mul_f64_e32 v[196:197], s[26:27], v[132:133]
	v_add_f64_e32 v[158:159], v[189:190], v[158:159]
	v_fma_f64 v[189:190], v[102:103], s[26:27], -v[194:195]
	v_add_f64_e32 v[187:188], v[187:188], v[198:199]
	s_delay_alu instid0(VALU_DEP_4) | instskip(NEXT) | instid1(VALU_DEP_3)
	v_fma_f64 v[198:199], v[88:89], s[42:43], v[196:197]
	v_add_f64_e32 v[160:161], v[189:190], v[160:161]
	v_fma_f64 v[189:190], v[88:89], s[28:29], v[196:197]
	s_delay_alu instid0(VALU_DEP_3) | instskip(SKIP_1) | instid1(VALU_DEP_3)
	v_add_f64_e32 v[187:188], v[198:199], v[187:188]
	v_mul_f64_e32 v[198:199], s[22:23], v[130:131]
	v_add_f64_e32 v[158:159], v[189:190], v[158:159]
	s_delay_alu instid0(VALU_DEP_2) | instskip(SKIP_1) | instid1(VALU_DEP_2)
	v_fma_f64 v[202:203], v[110:111], s[12:13], v[198:199]
	v_fma_f64 v[189:190], v[110:111], s[12:13], -v[198:199]
	v_add_f64_e32 v[185:186], v[202:203], v[185:186]
	v_mul_f64_e32 v[202:203], s[12:13], v[114:115]
	s_delay_alu instid0(VALU_DEP_3) | instskip(NEXT) | instid1(VALU_DEP_2)
	v_add_f64_e32 v[160:161], v[189:190], v[160:161]
	v_fma_f64 v[204:205], v[100:101], s[30:31], v[202:203]
	v_fma_f64 v[189:190], v[100:101], s[22:23], v[202:203]
	s_delay_alu instid0(VALU_DEP_2) | instskip(SKIP_1) | instid1(VALU_DEP_3)
	v_add_f64_e32 v[187:188], v[204:205], v[187:188]
	v_mul_f64_e32 v[204:205], s[40:41], v[128:129]
	v_add_f64_e32 v[158:159], v[189:190], v[158:159]
	s_delay_alu instid0(VALU_DEP_2) | instskip(SKIP_1) | instid1(VALU_DEP_2)
	v_fma_f64 v[206:207], v[116:117], s[0:1], v[204:205]
	v_fma_f64 v[189:190], v[116:117], s[0:1], -v[204:205]
	v_add_f64_e32 v[185:186], v[206:207], v[185:186]
	v_mul_f64_e32 v[206:207], s[0:1], v[118:119]
	s_delay_alu instid0(VALU_DEP_3) | instskip(NEXT) | instid1(VALU_DEP_2)
	v_add_f64_e32 v[160:161], v[189:190], v[160:161]
	v_fma_f64 v[208:209], v[108:109], s[14:15], v[206:207]
	v_fma_f64 v[189:190], v[108:109], s[40:41], v[206:207]
	s_delay_alu instid0(VALU_DEP_2) | instskip(SKIP_1) | instid1(VALU_DEP_3)
	v_add_f64_e32 v[187:188], v[208:209], v[187:188]
	v_mul_f64_e32 v[208:209], s[38:39], v[122:123]
	v_add_f64_e32 v[189:190], v[189:190], v[158:159]
	s_delay_alu instid0(VALU_DEP_2) | instskip(SKIP_1) | instid1(VALU_DEP_2)
	v_fma_f64 v[210:211], v[124:125], s[16:17], v[208:209]
	v_fma_f64 v[158:159], v[124:125], s[16:17], -v[208:209]
	v_add_f64_e32 v[185:186], v[210:211], v[185:186]
	v_mul_f64_e32 v[210:211], s[16:17], v[126:127]
	s_delay_alu instid0(VALU_DEP_3) | instskip(NEXT) | instid1(VALU_DEP_2)
	v_add_f64_e32 v[158:159], v[158:159], v[160:161]
	v_fma_f64 v[191:192], v[120:121], s[38:39], v[210:211]
	v_fma_f64 v[212:213], v[120:121], s[24:25], v[210:211]
	v_mul_f64_e32 v[210:211], s[20:21], v[122:123]
	v_mul_f64_e32 v[122:123], s[30:31], v[122:123]
	s_delay_alu instid0(VALU_DEP_4) | instskip(SKIP_4) | instid1(VALU_DEP_4)
	v_add_f64_e32 v[160:161], v[191:192], v[189:190]
	v_mul_f64_e32 v[189:190], s[30:31], v[142:143]
	v_add_f64_e32 v[187:188], v[212:213], v[187:188]
	v_mul_f64_e32 v[212:213], s[8:9], v[126:127]
	v_mul_f64_e32 v[142:143], s[28:29], v[142:143]
	v_fma_f64 v[191:192], v[90:91], s[12:13], v[189:190]
	v_fma_f64 v[189:190], v[90:91], s[12:13], -v[189:190]
	s_delay_alu instid0(VALU_DEP_2) | instskip(SKIP_1) | instid1(VALU_DEP_3)
	v_add_f64_e32 v[156:157], v[191:192], v[156:157]
	v_mul_f64_e32 v[191:192], s[12:13], v[136:137]
	v_add_f64_e32 v[152:153], v[189:190], v[152:153]
	v_mul_f64_e32 v[136:137], s[26:27], v[136:137]
	s_delay_alu instid0(VALU_DEP_3) | instskip(SKIP_2) | instid1(VALU_DEP_3)
	v_fma_f64 v[194:195], v[80:81], s[22:23], v[191:192]
	v_fma_f64 v[189:190], v[80:81], s[30:31], v[191:192]
	;; [unrolled: 1-line block ×3, first 2 shown]
	v_add_f64_e32 v[154:155], v[194:195], v[154:155]
	v_mul_f64_e32 v[194:195], s[24:25], v[134:135]
	s_delay_alu instid0(VALU_DEP_4) | instskip(SKIP_1) | instid1(VALU_DEP_3)
	v_add_f64_e32 v[150:151], v[189:190], v[150:151]
	v_mul_f64_e32 v[134:135], s[18:19], v[134:135]
	v_fma_f64 v[196:197], v[102:103], s[16:17], v[194:195]
	v_fma_f64 v[189:190], v[102:103], s[16:17], -v[194:195]
	s_delay_alu instid0(VALU_DEP_2) | instskip(SKIP_1) | instid1(VALU_DEP_3)
	v_add_f64_e32 v[156:157], v[196:197], v[156:157]
	v_mul_f64_e32 v[196:197], s[16:17], v[132:133]
	v_add_f64_e32 v[152:153], v[189:190], v[152:153]
	v_mul_f64_e32 v[132:133], s[2:3], v[132:133]
	s_delay_alu instid0(VALU_DEP_3) | instskip(SKIP_1) | instid1(VALU_DEP_2)
	v_fma_f64 v[198:199], v[88:89], s[38:39], v[196:197]
	v_fma_f64 v[189:190], v[88:89], s[24:25], v[196:197]
	v_add_f64_e32 v[154:155], v[198:199], v[154:155]
	v_mul_f64_e32 v[198:199], s[40:41], v[130:131]
	s_delay_alu instid0(VALU_DEP_3) | instskip(SKIP_1) | instid1(VALU_DEP_3)
	v_add_f64_e32 v[150:151], v[189:190], v[150:151]
	v_mul_f64_e32 v[130:131], s[38:39], v[130:131]
	v_fma_f64 v[202:203], v[110:111], s[0:1], v[198:199]
	v_fma_f64 v[189:190], v[110:111], s[0:1], -v[198:199]
	s_delay_alu instid0(VALU_DEP_2) | instskip(SKIP_1) | instid1(VALU_DEP_3)
	v_add_f64_e32 v[156:157], v[202:203], v[156:157]
	v_mul_f64_e32 v[202:203], s[0:1], v[114:115]
	v_add_f64_e32 v[152:153], v[189:190], v[152:153]
	v_mul_f64_e32 v[114:115], s[16:17], v[114:115]
	s_delay_alu instid0(VALU_DEP_3) | instskip(SKIP_1) | instid1(VALU_DEP_2)
	v_fma_f64 v[204:205], v[100:101], s[14:15], v[202:203]
	v_fma_f64 v[189:190], v[100:101], s[40:41], v[202:203]
	v_add_f64_e32 v[154:155], v[204:205], v[154:155]
	v_mul_f64_e32 v[204:205], s[28:29], v[128:129]
	s_delay_alu instid0(VALU_DEP_3) | instskip(NEXT) | instid1(VALU_DEP_2)
	v_add_f64_e32 v[150:151], v[189:190], v[150:151]
	v_fma_f64 v[206:207], v[116:117], s[26:27], v[204:205]
	v_fma_f64 v[189:190], v[116:117], s[26:27], -v[204:205]
	s_delay_alu instid0(VALU_DEP_2) | instskip(SKIP_1) | instid1(VALU_DEP_3)
	v_add_f64_e32 v[156:157], v[206:207], v[156:157]
	v_mul_f64_e32 v[206:207], s[26:27], v[118:119]
	v_add_f64_e32 v[152:153], v[189:190], v[152:153]
	v_mul_f64_e32 v[118:119], s[8:9], v[118:119]
	s_delay_alu instid0(VALU_DEP_3) | instskip(SKIP_1) | instid1(VALU_DEP_2)
	v_fma_f64 v[189:190], v[108:109], s[28:29], v[206:207]
	v_fma_f64 v[208:209], v[108:109], s[42:43], v[206:207]
	v_add_f64_e32 v[189:190], v[189:190], v[150:151]
	v_fma_f64 v[150:151], v[124:125], s[8:9], -v[210:211]
	s_delay_alu instid0(VALU_DEP_3) | instskip(SKIP_1) | instid1(VALU_DEP_3)
	v_add_f64_e32 v[208:209], v[208:209], v[154:155]
	v_fma_f64 v[154:155], v[124:125], s[8:9], v[210:211]
	v_add_f64_e32 v[150:151], v[150:151], v[152:153]
	v_add_f64_e32 v[152:153], v[191:192], v[189:190]
	v_fma_f64 v[189:190], v[90:91], s[26:27], v[142:143]
	v_fma_f64 v[142:143], v[90:91], s[26:27], -v[142:143]
	v_add_f64_e32 v[154:155], v[154:155], v[156:157]
	v_fma_f64 v[156:157], v[120:121], s[36:37], v[212:213]
	s_delay_alu instid0(VALU_DEP_4)
	v_add_f64_e32 v[148:149], v[189:190], v[148:149]
	v_fma_f64 v[189:190], v[80:81], s[42:43], v[136:137]
	v_fma_f64 v[136:137], v[80:81], s[28:29], v[136:137]
	;; [unrolled: 1-line block ×3, first 2 shown]
	v_add_f64_e32 v[140:141], v[142:143], v[140:141]
	v_add_f64_e32 v[156:157], v[156:157], v[208:209]
	;; [unrolled: 1-line block ×3, first 2 shown]
	v_fma_f64 v[189:190], v[102:103], s[2:3], v[134:135]
	v_add_f64_e32 v[136:137], v[136:137], v[138:139]
	v_fma_f64 v[134:135], v[102:103], s[2:3], -v[134:135]
	v_add_f64_e32 v[80:81], v[80:81], v[84:85]
	v_fma_f64 v[84:85], v[102:103], s[12:13], -v[94:95]
	v_add_f64_e32 v[148:149], v[189:190], v[148:149]
	v_fma_f64 v[189:190], v[88:89], s[34:35], v[132:133]
	v_fma_f64 v[132:133], v[88:89], s[18:19], v[132:133]
	v_add_f64_e32 v[134:135], v[134:135], v[140:141]
	v_add_f64_e32 v[82:83], v[84:85], v[82:83]
	;; [unrolled: 1-line block ×3, first 2 shown]
	v_fma_f64 v[84:85], v[110:111], s[8:9], -v[98:99]
	v_fma_f64 v[86:87], v[100:101], s[20:21], v[104:105]
	v_add_nc_u32_e32 v98, 0x820, v162
	v_add_f64_e32 v[146:147], v[189:190], v[146:147]
	v_fma_f64 v[189:190], v[110:111], s[16:17], v[130:131]
	v_add_f64_e32 v[132:133], v[132:133], v[136:137]
	v_fma_f64 v[130:131], v[110:111], s[16:17], -v[130:131]
	v_add_f64_e32 v[82:83], v[84:85], v[82:83]
	v_add_f64_e32 v[80:81], v[86:87], v[80:81]
	v_fma_f64 v[84:85], v[116:117], s[2:3], -v[106:107]
	v_fma_f64 v[86:87], v[108:109], s[18:19], v[112:113]
	v_add_f64_e32 v[148:149], v[189:190], v[148:149]
	v_fma_f64 v[189:190], v[100:101], s[24:25], v[114:115]
	v_fma_f64 v[114:115], v[100:101], s[38:39], v[114:115]
	v_add_f64_e32 v[130:131], v[130:131], v[134:135]
	v_add_f64_e32 v[82:83], v[84:85], v[82:83]
	;; [unrolled: 1-line block ×3, first 2 shown]
	v_fma_f64 v[80:81], v[124:125], s[0:1], -v[144:145]
	v_fma_f64 v[86:87], v[120:121], s[14:15], v[200:201]
	v_add_f64_e32 v[146:147], v[189:190], v[146:147]
	v_mul_f64_e32 v[189:190], s[20:21], v[128:129]
	v_add_f64_e32 v[114:115], v[114:115], v[132:133]
	v_add_f64_e32 v[80:81], v[80:81], v[82:83]
	;; [unrolled: 1-line block ×3, first 2 shown]
	s_delay_alu instid0(VALU_DEP_4) | instskip(SKIP_1) | instid1(VALU_DEP_2)
	v_fma_f64 v[128:129], v[116:117], s[8:9], v[189:190]
	v_fma_f64 v[132:133], v[116:117], s[8:9], -v[189:190]
	v_add_f64_e32 v[128:129], v[128:129], v[148:149]
	v_fma_f64 v[148:149], v[108:109], s[36:37], v[118:119]
	v_fma_f64 v[118:119], v[108:109], s[20:21], v[118:119]
	s_delay_alu instid0(VALU_DEP_4) | instskip(NEXT) | instid1(VALU_DEP_3)
	v_add_f64_e32 v[130:131], v[132:133], v[130:131]
	v_add_f64_e32 v[146:147], v[148:149], v[146:147]
	v_mul_f64_e32 v[148:149], s[12:13], v[126:127]
	v_fma_f64 v[126:127], v[124:125], s[12:13], v[122:123]
	v_add_f64_e32 v[114:115], v[118:119], v[114:115]
	v_fma_f64 v[118:119], v[124:125], s[12:13], -v[122:123]
	s_delay_alu instid0(VALU_DEP_4) | instskip(NEXT) | instid1(VALU_DEP_4)
	v_fma_f64 v[122:123], v[120:121], s[30:31], v[148:149]
	v_add_f64_e32 v[126:127], v[126:127], v[128:129]
	v_fma_f64 v[128:129], v[120:121], s[22:23], v[148:149]
	s_delay_alu instid0(VALU_DEP_4) | instskip(NEXT) | instid1(VALU_DEP_4)
	v_add_f64_e32 v[130:131], v[118:119], v[130:131]
	v_add_f64_e32 v[132:133], v[122:123], v[114:115]
	s_delay_alu instid0(VALU_DEP_3)
	v_add_f64_e32 v[128:129], v[128:129], v[146:147]
	ds_store_b128 v168, v[72:75] offset:16
	ds_store_b128 v168, v[169:172] offset:32
	;; [unrolled: 1-line block ×5, first 2 shown]
	ds_store_b128 v168, v[76:79]
	ds_store_b128 v168, v[126:129] offset:96
	ds_store_b128 v168, v[130:133] offset:112
	;; [unrolled: 1-line block ×7, first 2 shown]
	s_and_saveexec_b32 s33, vcc_lo
	s_cbranch_execz .LBB0_13
; %bb.12:
	v_add_f64_e32 v[72:73], v[26:27], v[30:31]
	v_add_f64_e32 v[74:75], v[24:25], v[28:29]
	v_add_f64_e64 v[84:85], v[40:41], -v[56:57]
	v_add_f64_e32 v[88:89], v[42:43], v[58:59]
	v_add_f64_e32 v[90:91], v[40:41], v[56:57]
	v_add_f64_e64 v[86:87], v[42:43], -v[58:59]
	v_add_f64_e64 v[92:93], v[36:37], -v[48:49]
	v_add_f64_e32 v[94:95], v[38:39], v[50:51]
	v_add_f64_e32 v[99:100], v[36:37], v[48:49]
	v_add_f64_e64 v[101:102], v[38:39], -v[50:51]
	;; [unrolled: 4-line block ×3, first 2 shown]
	v_add_f64_e32 v[72:73], v[72:73], v[34:35]
	v_add_f64_e32 v[74:75], v[74:75], v[32:33]
	s_delay_alu instid0(VALU_DEP_2) | instskip(NEXT) | instid1(VALU_DEP_2)
	v_add_f64_e32 v[72:73], v[72:73], v[38:39]
	v_add_f64_e32 v[74:75], v[74:75], v[36:37]
	s_delay_alu instid0(VALU_DEP_2) | instskip(NEXT) | instid1(VALU_DEP_2)
	;; [unrolled: 3-line block ×4, first 2 shown]
	v_add_f64_e32 v[76:77], v[72:73], v[62:63]
	v_add_f64_e32 v[78:79], v[74:75], v[60:61]
	v_add_f64_e64 v[74:75], v[60:61], -v[68:69]
	v_add_f64_e32 v[72:73], v[62:63], v[70:71]
	v_add_f64_e32 v[60:61], v[60:61], v[68:69]
	v_add_f64_e64 v[62:63], v[62:63], -v[70:71]
	;; [unrolled: 3-line block ×4, first 2 shown]
	v_mul_f64_e32 v[139:140], s[30:31], v[62:63]
	v_add_f64_e32 v[66:67], v[76:77], v[66:67]
	v_add_f64_e32 v[64:65], v[78:79], v[64:65]
	s_delay_alu instid0(VALU_DEP_2) | instskip(NEXT) | instid1(VALU_DEP_2)
	v_add_f64_e32 v[40:41], v[66:67], v[58:59]
	v_add_f64_e32 v[42:43], v[64:65], v[56:57]
	s_delay_alu instid0(VALU_DEP_2) | instskip(NEXT) | instid1(VALU_DEP_2)
	;; [unrolled: 3-line block ×3, first 2 shown]
	v_add_f64_e32 v[32:33], v[36:37], v[46:47]
	v_add_f64_e32 v[34:35], v[38:39], v[44:45]
	scratch_load_b128 v[44:47], off, off offset:8 th:TH_LOAD_LU ; 16-byte Folded Reload
	s_wait_loadcnt 0x0
	v_add_f64_e64 v[36:37], v[28:29], -v[44:45]
	v_add_f64_e32 v[38:39], v[30:31], v[46:47]
	v_add_f64_e32 v[40:41], v[28:29], v[44:45]
	v_add_f64_e64 v[42:43], v[30:31], -v[46:47]
	v_add_f64_e32 v[30:31], v[32:33], v[46:47]
	v_add_f64_e32 v[28:29], v[34:35], v[44:45]
	v_mul_f64_e32 v[32:33], s[14:15], v[36:37]
	v_mul_f64_e32 v[34:35], s[18:19], v[36:37]
	;; [unrolled: 1-line block ×10, first 2 shown]
	v_fma_f64 v[50:51], v[38:39], s[0:1], v[32:33]
	v_fma_f64 v[32:33], v[38:39], s[0:1], -v[32:33]
	v_fma_f64 v[56:57], v[38:39], s[2:3], v[34:35]
	v_fma_f64 v[34:35], v[38:39], s[2:3], -v[34:35]
	;; [unrolled: 2-line block ×6, first 2 shown]
	v_mul_f64_e32 v[38:39], s[14:15], v[42:43]
	v_mul_f64_e32 v[42:43], s[42:43], v[42:43]
	v_fma_f64 v[115:116], v[40:41], s[2:3], -v[78:79]
	v_fma_f64 v[78:79], v[40:41], s[2:3], v[78:79]
	v_fma_f64 v[117:118], v[40:41], s[8:9], -v[80:81]
	v_fma_f64 v[80:81], v[40:41], s[8:9], v[80:81]
	;; [unrolled: 2-line block ×4, first 2 shown]
	v_add_f64_e32 v[32:33], v[26:27], v[32:33]
	v_add_f64_e32 v[56:57], v[26:27], v[56:57]
	;; [unrolled: 1-line block ×10, first 2 shown]
	v_fma_f64 v[113:114], v[40:41], s[0:1], -v[38:39]
	v_fma_f64 v[38:39], v[40:41], s[0:1], v[38:39]
	v_fma_f64 v[123:124], v[40:41], s[26:27], -v[42:43]
	v_fma_f64 v[40:41], v[40:41], s[26:27], v[42:43]
	v_add_f64_e32 v[42:43], v[26:27], v[50:51]
	v_add_f64_e32 v[78:79], v[24:25], v[78:79]
	;; [unrolled: 1-line block ×8, first 2 shown]
	v_mul_f64_e32 v[36:37], s[28:29], v[109:110]
	v_mul_f64_e32 v[76:77], s[30:31], v[74:75]
	v_add_f64_e32 v[50:51], v[24:25], v[113:114]
	v_add_f64_e32 v[113:114], v[24:25], v[115:116]
	;; [unrolled: 1-line block ×3, first 2 shown]
	v_mul_f64_e32 v[34:35], s[28:29], v[103:104]
	v_add_f64_e32 v[38:39], v[24:25], v[38:39]
	v_add_f64_e32 v[123:124], v[24:25], v[123:124]
	;; [unrolled: 1-line block ×3, first 2 shown]
	v_mul_f64_e32 v[40:41], s[18:19], v[92:93]
	v_fma_f64 v[26:27], v[107:108], s[26:27], -v[36:37]
	v_fma_f64 v[24:25], v[105:106], s[26:27], v[34:35]
	v_fma_f64 v[34:35], v[105:106], s[26:27], -v[34:35]
	s_delay_alu instid0(VALU_DEP_3) | instskip(NEXT) | instid1(VALU_DEP_3)
	v_add_f64_e32 v[26:27], v[26:27], v[50:51]
	v_add_f64_e32 v[24:25], v[24:25], v[42:43]
	v_fma_f64 v[42:43], v[94:95], s[2:3], v[40:41]
	s_delay_alu instid0(VALU_DEP_4)
	v_add_f64_e32 v[32:33], v[34:35], v[32:33]
	v_fma_f64 v[34:35], v[107:108], s[26:27], v[36:37]
	v_fma_f64 v[36:37], v[94:95], s[2:3], -v[40:41]
	v_mul_f64_e32 v[40:41], s[30:31], v[103:104]
	v_add_f64_e32 v[24:25], v[42:43], v[24:25]
	v_mul_f64_e32 v[42:43], s[18:19], v[101:102]
	v_add_f64_e32 v[34:35], v[34:35], v[38:39]
	v_add_f64_e32 v[32:33], v[36:37], v[32:33]
	v_fma_f64 v[38:39], v[60:61], s[12:13], v[139:140]
	s_delay_alu instid0(VALU_DEP_4) | instskip(SKIP_2) | instid1(VALU_DEP_3)
	v_fma_f64 v[44:45], v[99:100], s[2:3], -v[42:43]
	v_fma_f64 v[36:37], v[99:100], s[2:3], v[42:43]
	v_mul_f64_e32 v[42:43], s[30:31], v[109:110]
	v_add_f64_e32 v[26:27], v[44:45], v[26:27]
	v_mul_f64_e32 v[44:45], s[38:39], v[84:85]
	s_delay_alu instid0(VALU_DEP_4) | instskip(NEXT) | instid1(VALU_DEP_2)
	v_add_f64_e32 v[34:35], v[36:37], v[34:35]
	v_fma_f64 v[46:47], v[88:89], s[16:17], v[44:45]
	v_fma_f64 v[36:37], v[88:89], s[16:17], -v[44:45]
	v_mul_f64_e32 v[44:45], s[24:25], v[92:93]
	s_delay_alu instid0(VALU_DEP_3) | instskip(SKIP_1) | instid1(VALU_DEP_4)
	v_add_f64_e32 v[24:25], v[46:47], v[24:25]
	v_mul_f64_e32 v[46:47], s[38:39], v[86:87]
	v_add_f64_e32 v[32:33], v[36:37], v[32:33]
	s_delay_alu instid0(VALU_DEP_2) | instskip(SKIP_3) | instid1(VALU_DEP_4)
	v_fma_f64 v[48:49], v[90:91], s[16:17], -v[46:47]
	v_fma_f64 v[36:37], v[90:91], s[16:17], v[46:47]
	v_fma_f64 v[46:47], v[94:95], s[16:17], v[44:45]
	v_fma_f64 v[44:45], v[94:95], s[16:17], -v[44:45]
	v_add_f64_e32 v[26:27], v[48:49], v[26:27]
	v_mul_f64_e32 v[48:49], s[20:21], v[70:71]
	v_add_f64_e32 v[34:35], v[36:37], v[34:35]
	s_delay_alu instid0(VALU_DEP_2) | instskip(SKIP_1) | instid1(VALU_DEP_2)
	v_fma_f64 v[50:51], v[68:69], s[8:9], v[48:49]
	v_fma_f64 v[36:37], v[68:69], s[8:9], -v[48:49]
	v_add_f64_e32 v[24:25], v[50:51], v[24:25]
	v_mul_f64_e32 v[50:51], s[20:21], v[54:55]
	s_delay_alu instid0(VALU_DEP_3) | instskip(NEXT) | instid1(VALU_DEP_2)
	v_add_f64_e32 v[32:33], v[36:37], v[32:33]
	v_fma_f64 v[36:37], v[52:53], s[8:9], v[50:51]
	v_fma_f64 v[66:67], v[52:53], s[8:9], -v[50:51]
	s_delay_alu instid0(VALU_DEP_2) | instskip(SKIP_1) | instid1(VALU_DEP_3)
	v_add_f64_e32 v[36:37], v[36:37], v[34:35]
	v_fma_f64 v[34:35], v[72:73], s[12:13], -v[76:77]
	v_add_f64_e32 v[66:67], v[66:67], v[26:27]
	v_fma_f64 v[26:27], v[72:73], s[12:13], v[76:77]
	s_delay_alu instid0(VALU_DEP_3)
	v_add_f64_e32 v[34:35], v[34:35], v[32:33]
	v_add_f64_e32 v[32:33], v[38:39], v[36:37]
	v_fma_f64 v[36:37], v[105:106], s[12:13], v[40:41]
	v_fma_f64 v[38:39], v[107:108], s[12:13], -v[42:43]
	v_fma_f64 v[40:41], v[105:106], s[12:13], -v[40:41]
	v_fma_f64 v[42:43], v[107:108], s[12:13], v[42:43]
	v_add_f64_e32 v[26:27], v[26:27], v[24:25]
	v_fma_f64 v[24:25], v[60:61], s[12:13], -v[139:140]
	v_mul_f64_e32 v[139:140], s[20:21], v[62:63]
	v_add_f64_e32 v[36:37], v[36:37], v[56:57]
	v_add_f64_e32 v[38:39], v[38:39], v[113:114]
	;; [unrolled: 1-line block ×4, first 2 shown]
	v_mul_f64_e32 v[113:114], s[20:21], v[74:75]
	v_add_f64_e32 v[24:25], v[24:25], v[66:67]
	v_add_f64_e32 v[36:37], v[46:47], v[36:37]
	v_mul_f64_e32 v[46:47], s[24:25], v[101:102]
	v_add_f64_e32 v[40:41], v[44:45], v[40:41]
	s_delay_alu instid0(VALU_DEP_2) | instskip(SKIP_2) | instid1(VALU_DEP_3)
	v_fma_f64 v[48:49], v[99:100], s[16:17], -v[46:47]
	v_fma_f64 v[44:45], v[99:100], s[16:17], v[46:47]
	v_fma_f64 v[46:47], v[60:61], s[8:9], v[139:140]
	v_add_f64_e32 v[38:39], v[48:49], v[38:39]
	v_mul_f64_e32 v[48:49], s[40:41], v[84:85]
	s_delay_alu instid0(VALU_DEP_4) | instskip(NEXT) | instid1(VALU_DEP_2)
	v_add_f64_e32 v[42:43], v[44:45], v[42:43]
	v_fma_f64 v[50:51], v[88:89], s[0:1], v[48:49]
	v_fma_f64 v[44:45], v[88:89], s[0:1], -v[48:49]
	v_mul_f64_e32 v[48:49], s[34:35], v[103:104]
	s_delay_alu instid0(VALU_DEP_3) | instskip(SKIP_1) | instid1(VALU_DEP_4)
	v_add_f64_e32 v[36:37], v[50:51], v[36:37]
	v_mul_f64_e32 v[50:51], s[40:41], v[86:87]
	v_add_f64_e32 v[40:41], v[44:45], v[40:41]
	s_delay_alu instid0(VALU_DEP_2) | instskip(SKIP_2) | instid1(VALU_DEP_3)
	v_fma_f64 v[56:57], v[90:91], s[0:1], -v[50:51]
	v_fma_f64 v[44:45], v[90:91], s[0:1], v[50:51]
	v_mul_f64_e32 v[50:51], s[34:35], v[109:110]
	v_add_f64_e32 v[38:39], v[56:57], v[38:39]
	v_mul_f64_e32 v[56:57], s[28:29], v[70:71]
	s_delay_alu instid0(VALU_DEP_4) | instskip(NEXT) | instid1(VALU_DEP_2)
	v_add_f64_e32 v[42:43], v[44:45], v[42:43]
	v_fma_f64 v[66:67], v[68:69], s[26:27], v[56:57]
	v_fma_f64 v[44:45], v[68:69], s[26:27], -v[56:57]
	v_mul_f64_e32 v[56:57], s[28:29], v[92:93]
	s_delay_alu instid0(VALU_DEP_3) | instskip(SKIP_1) | instid1(VALU_DEP_4)
	v_add_f64_e32 v[36:37], v[66:67], v[36:37]
	v_mul_f64_e32 v[66:67], s[28:29], v[54:55]
	v_add_f64_e32 v[40:41], v[44:45], v[40:41]
	s_delay_alu instid0(VALU_DEP_2) | instskip(SKIP_1) | instid1(VALU_DEP_2)
	v_fma_f64 v[44:45], v[52:53], s[26:27], v[66:67]
	v_fma_f64 v[76:77], v[52:53], s[26:27], -v[66:67]
	v_add_f64_e32 v[44:45], v[44:45], v[42:43]
	v_fma_f64 v[42:43], v[72:73], s[8:9], -v[113:114]
	s_delay_alu instid0(VALU_DEP_3) | instskip(SKIP_1) | instid1(VALU_DEP_3)
	v_add_f64_e32 v[76:77], v[76:77], v[38:39]
	v_fma_f64 v[38:39], v[72:73], s[8:9], v[113:114]
	v_add_f64_e32 v[42:43], v[42:43], v[40:41]
	v_add_f64_e32 v[40:41], v[46:47], v[44:45]
	v_fma_f64 v[44:45], v[105:106], s[2:3], v[48:49]
	v_fma_f64 v[46:47], v[107:108], s[2:3], -v[50:51]
	v_add_f64_e32 v[38:39], v[38:39], v[36:37]
	v_fma_f64 v[36:37], v[60:61], s[8:9], -v[139:140]
	v_fma_f64 v[48:49], v[105:106], s[2:3], -v[48:49]
	v_fma_f64 v[50:51], v[107:108], s[2:3], v[50:51]
	v_mul_f64_e32 v[139:140], s[38:39], v[62:63]
	v_add_f64_e32 v[44:45], v[44:45], v[58:59]
	v_fma_f64 v[58:59], v[94:95], s[26:27], v[56:57]
	v_add_f64_e32 v[46:47], v[46:47], v[117:118]
	v_add_f64_e32 v[36:37], v[36:37], v[76:77]
	;; [unrolled: 1-line block ×3, first 2 shown]
	v_fma_f64 v[56:57], v[94:95], s[26:27], -v[56:57]
	v_add_f64_e32 v[50:51], v[50:51], v[80:81]
	v_mul_f64_e32 v[117:118], s[38:39], v[74:75]
	v_mul_f64_e32 v[125:126], s[18:19], v[74:75]
	v_add_f64_e32 v[44:45], v[58:59], v[44:45]
	v_mul_f64_e32 v[58:59], s[28:29], v[101:102]
	v_add_f64_e32 v[48:49], v[56:57], v[48:49]
	s_delay_alu instid0(VALU_DEP_2) | instskip(SKIP_2) | instid1(VALU_DEP_3)
	v_fma_f64 v[66:67], v[99:100], s[26:27], -v[58:59]
	v_fma_f64 v[56:57], v[99:100], s[26:27], v[58:59]
	v_fma_f64 v[58:59], v[60:61], s[16:17], v[139:140]
	v_add_f64_e32 v[46:47], v[66:67], v[46:47]
	v_mul_f64_e32 v[66:67], s[22:23], v[84:85]
	s_delay_alu instid0(VALU_DEP_4) | instskip(NEXT) | instid1(VALU_DEP_2)
	v_add_f64_e32 v[50:51], v[56:57], v[50:51]
	v_fma_f64 v[76:77], v[88:89], s[12:13], v[66:67]
	v_fma_f64 v[56:57], v[88:89], s[12:13], -v[66:67]
	v_mul_f64_e32 v[66:67], s[14:15], v[103:104]
	s_delay_alu instid0(VALU_DEP_3) | instskip(SKIP_1) | instid1(VALU_DEP_4)
	v_add_f64_e32 v[44:45], v[76:77], v[44:45]
	v_mul_f64_e32 v[76:77], s[22:23], v[86:87]
	v_add_f64_e32 v[48:49], v[56:57], v[48:49]
	s_delay_alu instid0(VALU_DEP_2) | instskip(SKIP_2) | instid1(VALU_DEP_3)
	v_fma_f64 v[78:79], v[90:91], s[12:13], -v[76:77]
	v_fma_f64 v[56:57], v[90:91], s[12:13], v[76:77]
	v_mul_f64_e32 v[76:77], s[36:37], v[92:93]
	v_add_f64_e32 v[46:47], v[78:79], v[46:47]
	v_mul_f64_e32 v[78:79], s[40:41], v[70:71]
	s_delay_alu instid0(VALU_DEP_4) | instskip(NEXT) | instid1(VALU_DEP_2)
	v_add_f64_e32 v[50:51], v[56:57], v[50:51]
	v_fma_f64 v[113:114], v[68:69], s[0:1], v[78:79]
	v_fma_f64 v[56:57], v[68:69], s[0:1], -v[78:79]
	v_fma_f64 v[78:79], v[94:95], s[8:9], v[76:77]
	v_fma_f64 v[76:77], v[94:95], s[8:9], -v[76:77]
	s_delay_alu instid0(VALU_DEP_4) | instskip(SKIP_2) | instid1(VALU_DEP_2)
	v_add_f64_e32 v[44:45], v[113:114], v[44:45]
	v_mul_f64_e32 v[113:114], s[40:41], v[54:55]
	v_add_f64_e32 v[48:49], v[56:57], v[48:49]
	v_fma_f64 v[56:57], v[52:53], s[0:1], v[113:114]
	v_fma_f64 v[115:116], v[52:53], s[0:1], -v[113:114]
	s_delay_alu instid0(VALU_DEP_2) | instskip(SKIP_1) | instid1(VALU_DEP_3)
	v_add_f64_e32 v[56:57], v[56:57], v[50:51]
	v_fma_f64 v[50:51], v[72:73], s[16:17], -v[117:118]
	v_add_f64_e32 v[115:116], v[115:116], v[46:47]
	v_fma_f64 v[46:47], v[72:73], s[16:17], v[117:118]
	s_delay_alu instid0(VALU_DEP_3)
	v_add_f64_e32 v[50:51], v[50:51], v[48:49]
	v_add_f64_e32 v[48:49], v[58:59], v[56:57]
	v_fma_f64 v[56:57], v[105:106], s[0:1], v[66:67]
	v_fma_f64 v[66:67], v[105:106], s[0:1], -v[66:67]
	v_add_f64_e32 v[46:47], v[46:47], v[44:45]
	v_fma_f64 v[44:45], v[60:61], s[16:17], -v[139:140]
	v_mul_f64_e32 v[139:140], s[18:19], v[62:63]
	v_add_f64_e32 v[56:57], v[56:57], v[64:65]
	v_mul_f64_e32 v[64:65], s[14:15], v[109:110]
	v_add_f64_e32 v[66:67], v[66:67], v[127:128]
	v_add_f64_e32 v[44:45], v[44:45], v[115:116]
	s_delay_alu instid0(VALU_DEP_4) | instskip(NEXT) | instid1(VALU_DEP_4)
	v_add_f64_e32 v[56:57], v[78:79], v[56:57]
	v_fma_f64 v[58:59], v[107:108], s[0:1], -v[64:65]
	v_mul_f64_e32 v[78:79], s[36:37], v[101:102]
	v_fma_f64 v[64:65], v[107:108], s[0:1], v[64:65]
	v_add_f64_e32 v[66:67], v[76:77], v[66:67]
	s_delay_alu instid0(VALU_DEP_4) | instskip(NEXT) | instid1(VALU_DEP_4)
	v_add_f64_e32 v[58:59], v[58:59], v[119:120]
	v_fma_f64 v[80:81], v[99:100], s[8:9], -v[78:79]
	s_delay_alu instid0(VALU_DEP_4)
	v_add_f64_e32 v[64:65], v[64:65], v[82:83]
	v_fma_f64 v[76:77], v[99:100], s[8:9], v[78:79]
	v_fma_f64 v[78:79], v[60:61], s[2:3], v[139:140]
	v_mul_f64_e32 v[82:83], s[20:21], v[109:110]
	v_mul_f64_e32 v[109:110], s[24:25], v[109:110]
	v_add_f64_e32 v[58:59], v[80:81], v[58:59]
	v_mul_f64_e32 v[80:81], s[28:29], v[84:85]
	v_add_f64_e32 v[64:65], v[76:77], v[64:65]
	s_delay_alu instid0(VALU_DEP_2) | instskip(SKIP_3) | instid1(VALU_DEP_4)
	v_fma_f64 v[113:114], v[88:89], s[26:27], v[80:81]
	v_fma_f64 v[76:77], v[88:89], s[26:27], -v[80:81]
	v_mul_f64_e32 v[80:81], s[20:21], v[103:104]
	v_mul_f64_e32 v[103:104], s[24:25], v[103:104]
	v_add_f64_e32 v[56:57], v[113:114], v[56:57]
	v_mul_f64_e32 v[113:114], s[28:29], v[86:87]
	v_add_f64_e32 v[66:67], v[76:77], v[66:67]
	s_delay_alu instid0(VALU_DEP_2) | instskip(SKIP_3) | instid1(VALU_DEP_4)
	v_fma_f64 v[115:116], v[90:91], s[26:27], -v[113:114]
	v_fma_f64 v[76:77], v[90:91], s[26:27], v[113:114]
	v_mul_f64_e32 v[113:114], s[14:15], v[92:93]
	v_mul_f64_e32 v[92:93], s[22:23], v[92:93]
	v_add_f64_e32 v[58:59], v[115:116], v[58:59]
	v_mul_f64_e32 v[115:116], s[24:25], v[70:71]
	v_add_f64_e32 v[64:65], v[76:77], v[64:65]
	s_delay_alu instid0(VALU_DEP_2) | instskip(SKIP_2) | instid1(VALU_DEP_3)
	v_fma_f64 v[117:118], v[68:69], s[16:17], v[115:116]
	v_fma_f64 v[76:77], v[68:69], s[16:17], -v[115:116]
	v_fma_f64 v[115:116], v[94:95], s[0:1], v[113:114]
	v_add_f64_e32 v[56:57], v[117:118], v[56:57]
	v_mul_f64_e32 v[117:118], s[24:25], v[54:55]
	s_delay_alu instid0(VALU_DEP_4) | instskip(NEXT) | instid1(VALU_DEP_2)
	v_add_f64_e32 v[66:67], v[76:77], v[66:67]
	v_fma_f64 v[76:77], v[52:53], s[16:17], v[117:118]
	v_fma_f64 v[119:120], v[52:53], s[16:17], -v[117:118]
	s_delay_alu instid0(VALU_DEP_2) | instskip(SKIP_1) | instid1(VALU_DEP_3)
	v_add_f64_e32 v[64:65], v[76:77], v[64:65]
	v_fma_f64 v[76:77], v[72:73], s[2:3], -v[125:126]
	v_add_f64_e32 v[119:120], v[119:120], v[58:59]
	v_fma_f64 v[58:59], v[72:73], s[2:3], v[125:126]
	s_delay_alu instid0(VALU_DEP_4) | instskip(NEXT) | instid1(VALU_DEP_4)
	v_add_f64_e32 v[64:65], v[78:79], v[64:65]
	v_add_f64_e32 v[66:67], v[76:77], v[66:67]
	v_fma_f64 v[76:77], v[105:106], s[8:9], v[80:81]
	v_fma_f64 v[78:79], v[107:108], s[8:9], -v[82:83]
	v_add_f64_e32 v[58:59], v[58:59], v[56:57]
	v_fma_f64 v[56:57], v[60:61], s[2:3], -v[139:140]
	v_fma_f64 v[80:81], v[105:106], s[8:9], -v[80:81]
	v_fma_f64 v[82:83], v[107:108], s[8:9], v[82:83]
	v_mul_f64_e32 v[139:140], s[28:29], v[62:63]
	v_mul_f64_e32 v[62:63], s[14:15], v[62:63]
	v_add_f64_e32 v[76:77], v[76:77], v[129:130]
	v_add_f64_e32 v[78:79], v[78:79], v[121:122]
	v_mul_f64_e32 v[129:130], s[28:29], v[74:75]
	v_add_f64_e32 v[56:57], v[56:57], v[119:120]
	v_add_f64_e32 v[80:81], v[80:81], v[131:132]
	;; [unrolled: 1-line block ×3, first 2 shown]
	v_fma_f64 v[111:112], v[94:95], s[0:1], -v[113:114]
	v_fma_f64 v[113:114], v[60:61], s[26:27], v[139:140]
	v_mul_f64_e32 v[74:75], s[14:15], v[74:75]
	v_add_f64_e32 v[76:77], v[115:116], v[76:77]
	v_mul_f64_e32 v[115:116], s[14:15], v[101:102]
	v_mul_f64_e32 v[101:102], s[22:23], v[101:102]
	v_add_f64_e32 v[80:81], v[111:112], v[80:81]
	s_delay_alu instid0(VALU_DEP_3)
	v_fma_f64 v[117:118], v[99:100], s[0:1], -v[115:116]
	v_fma_f64 v[111:112], v[99:100], s[0:1], v[115:116]
	v_fma_f64 v[115:116], v[94:95], s[12:13], -v[92:93]
	v_fma_f64 v[92:93], v[94:95], s[12:13], v[92:93]
	v_fma_f64 v[94:95], v[99:100], s[12:13], -v[101:102]
	v_add_f64_e32 v[78:79], v[117:118], v[78:79]
	v_mul_f64_e32 v[117:118], s[34:35], v[84:85]
	v_add_f64_e32 v[82:83], v[111:112], v[82:83]
	s_delay_alu instid0(VALU_DEP_2) | instskip(SKIP_1) | instid1(VALU_DEP_2)
	v_fma_f64 v[119:120], v[88:89], s[2:3], v[117:118]
	v_fma_f64 v[111:112], v[88:89], s[2:3], -v[117:118]
	v_add_f64_e32 v[76:77], v[119:120], v[76:77]
	v_mul_f64_e32 v[119:120], s[34:35], v[86:87]
	s_delay_alu instid0(VALU_DEP_3) | instskip(NEXT) | instid1(VALU_DEP_2)
	v_add_f64_e32 v[80:81], v[111:112], v[80:81]
	v_fma_f64 v[121:122], v[90:91], s[2:3], -v[119:120]
	v_fma_f64 v[111:112], v[90:91], s[2:3], v[119:120]
	s_delay_alu instid0(VALU_DEP_2) | instskip(SKIP_1) | instid1(VALU_DEP_3)
	v_add_f64_e32 v[78:79], v[121:122], v[78:79]
	v_mul_f64_e32 v[121:122], s[30:31], v[70:71]
	v_add_f64_e32 v[82:83], v[111:112], v[82:83]
	v_mul_f64_e32 v[70:71], s[18:19], v[70:71]
	s_delay_alu instid0(VALU_DEP_3) | instskip(SKIP_1) | instid1(VALU_DEP_2)
	v_fma_f64 v[125:126], v[68:69], s[12:13], v[121:122]
	v_fma_f64 v[111:112], v[68:69], s[12:13], -v[121:122]
	v_add_f64_e32 v[76:77], v[125:126], v[76:77]
	v_mul_f64_e32 v[125:126], s[30:31], v[54:55]
	s_delay_alu instid0(VALU_DEP_3) | instskip(SKIP_1) | instid1(VALU_DEP_3)
	v_add_f64_e32 v[80:81], v[111:112], v[80:81]
	v_mul_f64_e32 v[54:55], s[18:19], v[54:55]
	v_fma_f64 v[111:112], v[52:53], s[12:13], v[125:126]
	v_fma_f64 v[127:128], v[52:53], s[12:13], -v[125:126]
	s_delay_alu instid0(VALU_DEP_2) | instskip(SKIP_1) | instid1(VALU_DEP_3)
	v_add_f64_e32 v[111:112], v[111:112], v[82:83]
	v_fma_f64 v[82:83], v[72:73], s[26:27], -v[129:130]
	v_add_f64_e32 v[127:128], v[127:128], v[78:79]
	v_fma_f64 v[78:79], v[72:73], s[26:27], v[129:130]
	s_delay_alu instid0(VALU_DEP_3)
	v_add_f64_e32 v[82:83], v[82:83], v[80:81]
	v_add_f64_e32 v[80:81], v[113:114], v[111:112]
	v_fma_f64 v[111:112], v[105:106], s[16:17], -v[103:104]
	v_fma_f64 v[113:114], v[107:108], s[16:17], v[109:110]
	v_fma_f64 v[103:104], v[105:106], s[16:17], v[103:104]
	v_fma_f64 v[105:106], v[107:108], s[16:17], -v[109:110]
	v_add_f64_e32 v[78:79], v[78:79], v[76:77]
	v_fma_f64 v[76:77], v[60:61], s[26:27], -v[139:140]
	v_add_f64_e32 v[111:112], v[111:112], v[135:136]
	v_add_f64_e32 v[113:114], v[113:114], v[137:138]
	s_delay_alu instid0(VALU_DEP_3) | instskip(NEXT) | instid1(VALU_DEP_3)
	v_add_f64_e32 v[76:77], v[76:77], v[127:128]
	v_add_f64_e32 v[111:112], v[115:116], v[111:112]
	v_fma_f64 v[115:116], v[99:100], s[12:13], v[101:102]
	v_add_f64_e32 v[101:102], v[105:106], v[123:124]
	v_add_f64_e32 v[99:100], v[103:104], v[133:134]
	s_delay_alu instid0(VALU_DEP_3) | instskip(SKIP_1) | instid1(VALU_DEP_4)
	v_add_f64_e32 v[113:114], v[115:116], v[113:114]
	v_mul_f64_e32 v[115:116], s[20:21], v[84:85]
	v_add_f64_e32 v[94:95], v[94:95], v[101:102]
	s_delay_alu instid0(VALU_DEP_4) | instskip(NEXT) | instid1(VALU_DEP_3)
	v_add_f64_e32 v[92:93], v[92:93], v[99:100]
	v_fma_f64 v[84:85], v[88:89], s[8:9], -v[115:116]
	v_fma_f64 v[88:89], v[88:89], s[8:9], v[115:116]
	s_delay_alu instid0(VALU_DEP_2) | instskip(SKIP_1) | instid1(VALU_DEP_1)
	v_add_f64_e32 v[84:85], v[84:85], v[111:112]
	v_mul_f64_e32 v[111:112], s[20:21], v[86:87]
	v_fma_f64 v[86:87], v[90:91], s[8:9], v[111:112]
	v_fma_f64 v[90:91], v[90:91], s[8:9], -v[111:112]
	s_delay_alu instid0(VALU_DEP_2) | instskip(SKIP_2) | instid1(VALU_DEP_4)
	v_add_f64_e32 v[86:87], v[86:87], v[113:114]
	v_fma_f64 v[113:114], v[68:69], s[2:3], -v[70:71]
	v_fma_f64 v[68:69], v[68:69], s[2:3], v[70:71]
	v_add_f64_e32 v[70:71], v[90:91], v[94:95]
	s_delay_alu instid0(VALU_DEP_3) | instskip(SKIP_3) | instid1(VALU_DEP_3)
	v_add_f64_e32 v[84:85], v[113:114], v[84:85]
	v_fma_f64 v[113:114], v[52:53], s[2:3], v[54:55]
	v_fma_f64 v[52:53], v[52:53], s[2:3], -v[54:55]
	v_add_f64_e32 v[54:55], v[88:89], v[92:93]
	v_add_f64_e32 v[113:114], v[113:114], v[86:87]
	v_fma_f64 v[86:87], v[72:73], s[0:1], -v[74:75]
	s_delay_alu instid0(VALU_DEP_4) | instskip(SKIP_2) | instid1(VALU_DEP_4)
	v_add_f64_e32 v[52:53], v[52:53], v[70:71]
	v_fma_f64 v[72:73], v[72:73], s[0:1], v[74:75]
	v_add_f64_e32 v[54:55], v[68:69], v[54:55]
	v_add_f64_e32 v[86:87], v[86:87], v[84:85]
	v_fma_f64 v[84:85], v[60:61], s[0:1], v[62:63]
	v_fma_f64 v[60:61], v[60:61], s[0:1], -v[62:63]
	s_delay_alu instid0(VALU_DEP_4) | instskip(NEXT) | instid1(VALU_DEP_3)
	v_add_f64_e32 v[54:55], v[72:73], v[54:55]
	v_add_f64_e32 v[84:85], v[84:85], v[113:114]
	s_delay_alu instid0(VALU_DEP_3)
	v_add_f64_e32 v[52:53], v[60:61], v[52:53]
	scratch_load_b32 v60, off, off offset:892 th:TH_LOAD_LU ; 4-byte Folded Reload
	s_wait_loadcnt 0x0
	v_lshl_add_u32 v60, v60, 4, v215
	ds_store_b128 v60, v[84:87] offset:16
	ds_store_b128 v60, v[80:83] offset:32
	;; [unrolled: 1-line block ×11, first 2 shown]
	ds_store_b128 v60, v[28:31]
	ds_store_b128 v60, v[52:55] offset:192
.LBB0_13:
	s_wait_alu 0xfffe
	s_or_b32 exec_lo, exec_lo, s33
	global_wb scope:SCOPE_SE
	s_wait_dscnt 0x0
	s_barrier_signal -1
	s_barrier_wait -1
	global_inv scope:SCOPE_SE
	s_clause 0x1
	scratch_load_b128 v[30:33], off, off offset:256 th:TH_LOAD_LU
	scratch_load_b128 v[34:37], off, off offset:288 th:TH_LOAD_LU
	ds_load_b128 v[24:27], v162 offset:5200
	s_mov_b32 s8, 0x134454ff
	s_mov_b32 s9, 0xbfee6f0e
	;; [unrolled: 1-line block ×3, first 2 shown]
	s_wait_alu 0xfffe
	s_mov_b32 s12, s8
	s_mov_b32 s0, 0x4755a5e
	;; [unrolled: 1-line block ×4, first 2 shown]
	s_wait_alu 0xfffe
	s_mov_b32 s2, s0
	s_mov_b32 s14, 0x372fe950
	;; [unrolled: 1-line block ×3, first 2 shown]
	s_clause 0x2
	scratch_load_b128 v[99:102], off, off offset:624 th:TH_LOAD_LU
	scratch_load_b128 v[38:41], off, off offset:512 th:TH_LOAD_LU
	;; [unrolled: 1-line block ×3, first 2 shown]
	s_wait_loadcnt_dscnt 0x400
	v_mul_f64_e32 v[28:29], v[32:33], v[26:27]
	s_delay_alu instid0(VALU_DEP_1) | instskip(SKIP_1) | instid1(VALU_DEP_1)
	v_fma_f64 v[28:29], v[30:31], v[24:25], v[28:29]
	v_mul_f64_e32 v[24:25], v[32:33], v[24:25]
	v_fma_f64 v[30:31], v[30:31], v[26:27], -v[24:25]
	ds_load_b128 v[24:27], v162 offset:10400
	s_wait_loadcnt_dscnt 0x300
	v_mul_f64_e32 v[32:33], v[36:37], v[26:27]
	s_delay_alu instid0(VALU_DEP_1) | instskip(SKIP_1) | instid1(VALU_DEP_1)
	v_fma_f64 v[107:108], v[34:35], v[24:25], v[32:33]
	v_mul_f64_e32 v[24:25], v[36:37], v[24:25]
	v_fma_f64 v[109:110], v[34:35], v[26:27], -v[24:25]
	scratch_load_b128 v[34:37], off, off offset:320 th:TH_LOAD_LU ; 16-byte Folded Reload
	ds_load_b128 v[24:27], v162 offset:15600
	s_wait_loadcnt_dscnt 0x0
	v_mul_f64_e32 v[32:33], v[36:37], v[26:27]
	s_delay_alu instid0(VALU_DEP_1) | instskip(SKIP_1) | instid1(VALU_DEP_2)
	v_fma_f64 v[111:112], v[34:35], v[24:25], v[32:33]
	v_mul_f64_e32 v[24:25], v[36:37], v[24:25]
	v_add_f64_e64 v[127:128], v[107:108], -v[111:112]
	s_delay_alu instid0(VALU_DEP_2)
	v_fma_f64 v[113:114], v[34:35], v[26:27], -v[24:25]
	scratch_load_b128 v[34:37], off, off offset:304 th:TH_LOAD_LU ; 16-byte Folded Reload
	ds_load_b128 v[24:27], v162 offset:20800
	v_add_f64_e64 v[123:124], v[109:110], -v[113:114]
	s_wait_loadcnt_dscnt 0x0
	v_mul_f64_e32 v[32:33], v[36:37], v[26:27]
	s_delay_alu instid0(VALU_DEP_1) | instskip(SKIP_1) | instid1(VALU_DEP_2)
	v_fma_f64 v[115:116], v[34:35], v[24:25], v[32:33]
	v_mul_f64_e32 v[24:25], v[36:37], v[24:25]
	v_add_f64_e64 v[129:130], v[28:29], -v[115:116]
	s_delay_alu instid0(VALU_DEP_2)
	v_fma_f64 v[117:118], v[34:35], v[26:27], -v[24:25]
	scratch_load_b128 v[34:37], off, off offset:240 th:TH_LOAD_LU ; 16-byte Folded Reload
	ds_load_b128 v[24:27], v162 offset:6240
	v_add_f64_e64 v[125:126], v[30:31], -v[117:118]
	s_wait_loadcnt_dscnt 0x0
	v_mul_f64_e32 v[32:33], v[36:37], v[26:27]
	s_delay_alu instid0(VALU_DEP_1) | instskip(SKIP_1) | instid1(VALU_DEP_1)
	v_fma_f64 v[82:83], v[34:35], v[24:25], v[32:33]
	v_mul_f64_e32 v[24:25], v[36:37], v[24:25]
	v_fma_f64 v[80:81], v[34:35], v[26:27], -v[24:25]
	scratch_load_b128 v[34:37], off, off offset:272 th:TH_LOAD_LU ; 16-byte Folded Reload
	ds_load_b128 v[24:27], v162 offset:11440
	s_wait_loadcnt_dscnt 0x0
	v_mul_f64_e32 v[32:33], v[36:37], v[26:27]
	s_delay_alu instid0(VALU_DEP_1) | instskip(SKIP_1) | instid1(VALU_DEP_1)
	v_fma_f64 v[84:85], v[34:35], v[24:25], v[32:33]
	v_mul_f64_e32 v[24:25], v[36:37], v[24:25]
	v_fma_f64 v[86:87], v[34:35], v[26:27], -v[24:25]
	scratch_load_b128 v[34:37], off, off offset:336 th:TH_LOAD_LU ; 16-byte Folded Reload
	ds_load_b128 v[24:27], v162 offset:16640
	;; [unrolled: 8-line block ×11, first 2 shown]
	s_wait_loadcnt_dscnt 0x0
	v_mul_f64_e32 v[32:33], v[36:37], v[26:27]
	s_delay_alu instid0(VALU_DEP_1) | instskip(SKIP_1) | instid1(VALU_DEP_1)
	v_fma_f64 v[60:61], v[34:35], v[24:25], v[32:33]
	v_mul_f64_e32 v[24:25], v[36:37], v[24:25]
	v_fma_f64 v[62:63], v[34:35], v[26:27], -v[24:25]
	ds_load_b128 v[24:27], v162 offset:9360
	s_wait_dscnt 0x0
	v_mul_f64_e32 v[32:33], v[40:41], v[26:27]
	s_delay_alu instid0(VALU_DEP_1) | instskip(SKIP_1) | instid1(VALU_DEP_1)
	v_fma_f64 v[36:37], v[38:39], v[24:25], v[32:33]
	v_mul_f64_e32 v[24:25], v[40:41], v[24:25]
	v_fma_f64 v[32:33], v[38:39], v[26:27], -v[24:25]
	scratch_load_b128 v[38:41], off, off offset:528 th:TH_LOAD_LU ; 16-byte Folded Reload
	ds_load_b128 v[24:27], v162 offset:14560
	s_wait_loadcnt_dscnt 0x0
	v_mul_f64_e32 v[34:35], v[40:41], v[26:27]
	s_delay_alu instid0(VALU_DEP_1) | instskip(SKIP_1) | instid1(VALU_DEP_1)
	v_fma_f64 v[42:43], v[38:39], v[24:25], v[34:35]
	v_mul_f64_e32 v[24:25], v[40:41], v[24:25]
	v_fma_f64 v[34:35], v[38:39], v[26:27], -v[24:25]
	ds_load_b128 v[24:27], v162 offset:19760
	s_wait_dscnt 0x0
	v_mul_f64_e32 v[38:39], v[46:47], v[26:27]
	s_delay_alu instid0(VALU_DEP_1) | instskip(SKIP_1) | instid1(VALU_DEP_1)
	v_fma_f64 v[40:41], v[44:45], v[24:25], v[38:39]
	v_mul_f64_e32 v[24:25], v[46:47], v[24:25]
	v_fma_f64 v[38:39], v[44:45], v[26:27], -v[24:25]
	ds_load_b128 v[24:27], v162 offset:24960
	s_wait_dscnt 0x0
	v_mul_f64_e32 v[44:45], v[101:102], v[26:27]
	s_delay_alu instid0(VALU_DEP_1) | instskip(SKIP_1) | instid1(VALU_DEP_1)
	v_fma_f64 v[46:47], v[99:100], v[24:25], v[44:45]
	v_mul_f64_e32 v[24:25], v[101:102], v[24:25]
	v_fma_f64 v[44:45], v[99:100], v[26:27], -v[24:25]
	v_add_f64_e64 v[24:25], v[107:108], -v[28:29]
	v_add_f64_e64 v[26:27], v[111:112], -v[115:116]
	v_add_f64_e32 v[99:100], v[28:29], v[115:116]
	s_delay_alu instid0(VALU_DEP_2) | instskip(SKIP_2) | instid1(VALU_DEP_1)
	v_add_f64_e32 v[103:104], v[24:25], v[26:27]
	v_add_f64_e64 v[24:25], v[109:110], -v[30:31]
	v_add_f64_e64 v[26:27], v[113:114], -v[117:118]
	v_add_f64_e32 v[105:106], v[24:25], v[26:27]
	ds_load_b128 v[24:27], v162
	s_wait_dscnt 0x0
	v_fma_f64 v[119:120], v[99:100], -0.5, v[24:25]
	v_add_f64_e32 v[99:100], v[30:31], v[117:118]
	s_delay_alu instid0(VALU_DEP_1) | instskip(NEXT) | instid1(VALU_DEP_3)
	v_fma_f64 v[121:122], v[99:100], -0.5, v[26:27]
	v_fma_f64 v[99:100], v[123:124], s[12:13], v[119:120]
	v_fma_f64 v[119:120], v[123:124], s[8:9], v[119:120]
	s_delay_alu instid0(VALU_DEP_3) | instskip(SKIP_1) | instid1(VALU_DEP_4)
	v_fma_f64 v[101:102], v[127:128], s[8:9], v[121:122]
	v_fma_f64 v[121:122], v[127:128], s[12:13], v[121:122]
	;; [unrolled: 1-line block ×3, first 2 shown]
	s_wait_alu 0xfffe
	s_delay_alu instid0(VALU_DEP_4) | instskip(NEXT) | instid1(VALU_DEP_4)
	v_fma_f64 v[119:120], v[125:126], s[2:3], v[119:120]
	v_fma_f64 v[101:102], v[129:130], s[2:3], v[101:102]
	s_delay_alu instid0(VALU_DEP_4) | instskip(NEXT) | instid1(VALU_DEP_4)
	v_fma_f64 v[121:122], v[129:130], s[0:1], v[121:122]
	v_fma_f64 v[99:100], v[103:104], s[14:15], v[99:100]
	s_delay_alu instid0(VALU_DEP_4) | instskip(SKIP_4) | instid1(VALU_DEP_4)
	v_fma_f64 v[103:104], v[103:104], s[14:15], v[119:120]
	v_add_f64_e32 v[119:120], v[107:108], v[111:112]
	v_fma_f64 v[101:102], v[105:106], s[14:15], v[101:102]
	v_fma_f64 v[105:106], v[105:106], s[14:15], v[121:122]
	v_add_f64_e32 v[121:122], v[109:110], v[113:114]
	v_fma_f64 v[119:120], v[119:120], -0.5, v[24:25]
	v_add_f64_e32 v[24:25], v[24:25], v[28:29]
	v_add_f64_e64 v[28:29], v[28:29], -v[107:108]
	s_delay_alu instid0(VALU_DEP_4) | instskip(SKIP_3) | instid1(VALU_DEP_3)
	v_fma_f64 v[121:122], v[121:122], -0.5, v[26:27]
	v_add_f64_e32 v[26:27], v[26:27], v[30:31]
	v_add_f64_e64 v[30:31], v[30:31], -v[109:110]
	v_add_f64_e32 v[24:25], v[24:25], v[107:108]
	v_add_f64_e32 v[26:27], v[26:27], v[109:110]
	s_delay_alu instid0(VALU_DEP_2) | instskip(SKIP_1) | instid1(VALU_DEP_3)
	v_add_f64_e32 v[24:25], v[24:25], v[111:112]
	v_add_f64_e64 v[111:112], v[115:116], -v[111:112]
	v_add_f64_e32 v[26:27], v[26:27], v[113:114]
	s_delay_alu instid0(VALU_DEP_3)
	v_add_f64_e32 v[107:108], v[24:25], v[115:116]
	v_add_f64_e64 v[24:25], v[117:118], -v[113:114]
	v_fma_f64 v[113:114], v[125:126], s[12:13], v[119:120]
	v_fma_f64 v[115:116], v[129:130], s[12:13], v[121:122]
	v_add_f64_e32 v[28:29], v[28:29], v[111:112]
	v_add_f64_e32 v[109:110], v[26:27], v[117:118]
	v_fma_f64 v[26:27], v[125:126], s[8:9], v[119:120]
	v_fma_f64 v[117:118], v[129:130], s[8:9], v[121:122]
	v_add_f64_e32 v[24:25], v[30:31], v[24:25]
	v_fma_f64 v[30:31], v[123:124], s[2:3], v[113:114]
	v_fma_f64 v[113:114], v[127:128], s[2:3], v[115:116]
	;; [unrolled: 1-line block ×4, first 2 shown]
	s_delay_alu instid0(VALU_DEP_4) | instskip(NEXT) | instid1(VALU_DEP_4)
	v_fma_f64 v[115:116], v[28:29], s[14:15], v[30:31]
	v_fma_f64 v[113:114], v[24:25], s[14:15], v[113:114]
	s_delay_alu instid0(VALU_DEP_4) | instskip(NEXT) | instid1(VALU_DEP_4)
	v_fma_f64 v[111:112], v[28:29], s[14:15], v[26:27]
	v_fma_f64 v[117:118], v[24:25], s[14:15], v[117:118]
	ds_load_b128 v[24:27], v162 offset:4160
	ds_load_b128 v[119:122], v162 offset:1040
	;; [unrolled: 1-line block ×4, first 2 shown]
	global_wb scope:SCOPE_SE
	s_wait_dscnt 0x0
	s_barrier_signal -1
	s_barrier_wait -1
	global_inv scope:SCOPE_SE
	scratch_load_b32 v127, off, off offset:884 th:TH_LOAD_LU ; 4-byte Folded Reload
	s_wait_loadcnt 0x0
	ds_store_b128 v127, v[107:110]
	ds_store_b128 v127, v[111:114] offset:208
	ds_store_b128 v127, v[99:102] offset:416
	;; [unrolled: 1-line block ×4, first 2 shown]
	v_add_f64_e64 v[99:100], v[84:85], -v[82:83]
	v_add_f64_e64 v[101:102], v[90:91], -v[92:93]
	;; [unrolled: 1-line block ×7, first 2 shown]
	v_add_f64_e32 v[103:104], v[99:100], v[101:102]
	v_add_f64_e64 v[99:100], v[86:87], -v[80:81]
	v_add_f64_e64 v[101:102], v[88:89], -v[94:95]
	s_delay_alu instid0(VALU_DEP_1) | instskip(SKIP_1) | instid1(VALU_DEP_1)
	v_add_f64_e32 v[105:106], v[99:100], v[101:102]
	v_add_f64_e32 v[99:100], v[82:83], v[92:93]
	v_fma_f64 v[107:108], v[99:100], -0.5, v[119:120]
	v_add_f64_e32 v[99:100], v[80:81], v[94:95]
	s_delay_alu instid0(VALU_DEP_1) | instskip(NEXT) | instid1(VALU_DEP_3)
	v_fma_f64 v[109:110], v[99:100], -0.5, v[121:122]
	v_fma_f64 v[99:100], v[111:112], s[12:13], v[107:108]
	v_fma_f64 v[107:108], v[111:112], s[8:9], v[107:108]
	s_delay_alu instid0(VALU_DEP_3) | instskip(SKIP_1) | instid1(VALU_DEP_4)
	v_fma_f64 v[101:102], v[115:116], s[8:9], v[109:110]
	v_fma_f64 v[109:110], v[115:116], s[12:13], v[109:110]
	;; [unrolled: 1-line block ×3, first 2 shown]
	s_delay_alu instid0(VALU_DEP_4) | instskip(NEXT) | instid1(VALU_DEP_4)
	v_fma_f64 v[107:108], v[113:114], s[2:3], v[107:108]
	v_fma_f64 v[101:102], v[117:118], s[2:3], v[101:102]
	s_delay_alu instid0(VALU_DEP_4) | instskip(NEXT) | instid1(VALU_DEP_4)
	v_fma_f64 v[109:110], v[117:118], s[0:1], v[109:110]
	v_fma_f64 v[99:100], v[103:104], s[14:15], v[99:100]
	s_delay_alu instid0(VALU_DEP_4) | instskip(SKIP_4) | instid1(VALU_DEP_4)
	v_fma_f64 v[103:104], v[103:104], s[14:15], v[107:108]
	v_add_f64_e32 v[107:108], v[84:85], v[90:91]
	v_fma_f64 v[101:102], v[105:106], s[14:15], v[101:102]
	v_fma_f64 v[105:106], v[105:106], s[14:15], v[109:110]
	v_add_f64_e32 v[109:110], v[86:87], v[88:89]
	v_fma_f64 v[107:108], v[107:108], -0.5, v[119:120]
	v_add_f64_e32 v[119:120], v[119:120], v[82:83]
	s_delay_alu instid0(VALU_DEP_3) | instskip(SKIP_1) | instid1(VALU_DEP_3)
	v_fma_f64 v[109:110], v[109:110], -0.5, v[121:122]
	v_add_f64_e32 v[121:122], v[121:122], v[80:81]
	v_add_f64_e32 v[82:83], v[119:120], v[84:85]
	s_delay_alu instid0(VALU_DEP_2) | instskip(SKIP_1) | instid1(VALU_DEP_3)
	v_add_f64_e32 v[84:85], v[121:122], v[86:87]
	v_add_f64_e64 v[86:87], v[80:81], -v[86:87]
	v_add_f64_e32 v[80:81], v[82:83], v[90:91]
	s_delay_alu instid0(VALU_DEP_3)
	v_add_f64_e32 v[82:83], v[84:85], v[88:89]
	v_add_f64_e64 v[84:85], v[92:93], -v[90:91]
	v_add_f64_e64 v[88:89], v[94:95], -v[88:89]
	v_fma_f64 v[90:91], v[113:114], s[8:9], v[107:108]
	v_add_f64_e32 v[80:81], v[80:81], v[92:93]
	v_fma_f64 v[92:93], v[113:114], s[12:13], v[107:108]
	v_fma_f64 v[107:108], v[117:118], s[8:9], v[109:110]
	v_add_f64_e32 v[82:83], v[82:83], v[94:95]
	v_fma_f64 v[94:95], v[117:118], s[12:13], v[109:110]
	v_add_f64_e32 v[109:110], v[127:128], v[84:85]
	v_add_f64_e32 v[113:114], v[86:87], v[88:89]
	v_fma_f64 v[84:85], v[111:112], s[0:1], v[90:91]
	v_fma_f64 v[88:89], v[111:112], s[2:3], v[92:93]
	;; [unrolled: 1-line block ×3, first 2 shown]
	v_add_f64_e64 v[92:93], v[66:67], -v[70:71]
	v_fma_f64 v[86:87], v[115:116], s[2:3], v[94:95]
	v_add_f64_e64 v[94:95], v[64:65], -v[76:77]
	v_fma_f64 v[84:85], v[109:110], s[14:15], v[84:85]
	v_fma_f64 v[88:89], v[109:110], s[14:15], v[88:89]
	;; [unrolled: 1-line block ×4, first 2 shown]
	ds_store_b128 v193, v[80:83]
	ds_store_b128 v193, v[84:87] offset:208
	ds_store_b128 v193, v[99:102] offset:416
	;; [unrolled: 1-line block ×4, first 2 shown]
	v_add_f64_e64 v[80:81], v[74:75], -v[68:69]
	v_add_f64_e64 v[82:83], v[72:73], -v[78:79]
	;; [unrolled: 1-line block ×4, first 2 shown]
	v_add_f64_e32 v[103:104], v[123:124], v[68:69]
	v_add_f64_e32 v[105:106], v[125:126], v[64:65]
	;; [unrolled: 1-line block ×3, first 2 shown]
	v_add_f64_e64 v[80:81], v[66:67], -v[64:65]
	v_add_f64_e64 v[82:83], v[70:71], -v[76:77]
	s_delay_alu instid0(VALU_DEP_1) | instskip(SKIP_2) | instid1(VALU_DEP_2)
	v_add_f64_e32 v[86:87], v[80:81], v[82:83]
	v_add_f64_e32 v[80:81], v[68:69], v[78:79]
	v_add_f64_e64 v[68:69], v[68:69], -v[74:75]
	v_fma_f64 v[88:89], v[80:81], -0.5, v[123:124]
	v_add_f64_e32 v[80:81], v[64:65], v[76:77]
	v_add_f64_e64 v[64:65], v[64:65], -v[66:67]
	s_delay_alu instid0(VALU_DEP_2) | instskip(NEXT) | instid1(VALU_DEP_4)
	v_fma_f64 v[90:91], v[80:81], -0.5, v[125:126]
	v_fma_f64 v[80:81], v[92:93], s[12:13], v[88:89]
	v_fma_f64 v[88:89], v[92:93], s[8:9], v[88:89]
	s_delay_alu instid0(VALU_DEP_3) | instskip(NEXT) | instid1(VALU_DEP_3)
	v_fma_f64 v[82:83], v[99:100], s[8:9], v[90:91]
	v_fma_f64 v[80:81], v[94:95], s[0:1], v[80:81]
	s_delay_alu instid0(VALU_DEP_3) | instskip(SKIP_1) | instid1(VALU_DEP_4)
	v_fma_f64 v[88:89], v[94:95], s[2:3], v[88:89]
	v_fma_f64 v[90:91], v[99:100], s[12:13], v[90:91]
	;; [unrolled: 1-line block ×3, first 2 shown]
	s_delay_alu instid0(VALU_DEP_4) | instskip(NEXT) | instid1(VALU_DEP_4)
	v_fma_f64 v[80:81], v[84:85], s[14:15], v[80:81]
	v_fma_f64 v[84:85], v[84:85], s[14:15], v[88:89]
	v_add_f64_e32 v[88:89], v[74:75], v[72:73]
	v_fma_f64 v[90:91], v[101:102], s[0:1], v[90:91]
	v_add_f64_e32 v[74:75], v[103:104], v[74:75]
	v_fma_f64 v[82:83], v[86:87], s[14:15], v[82:83]
	s_delay_alu instid0(VALU_DEP_4) | instskip(NEXT) | instid1(VALU_DEP_4)
	v_fma_f64 v[88:89], v[88:89], -0.5, v[123:124]
	v_fma_f64 v[86:87], v[86:87], s[14:15], v[90:91]
	v_add_f64_e32 v[90:91], v[66:67], v[70:71]
	v_add_f64_e32 v[74:75], v[74:75], v[72:73]
	s_delay_alu instid0(VALU_DEP_4)
	v_fma_f64 v[103:104], v[94:95], s[8:9], v[88:89]
	v_fma_f64 v[88:89], v[94:95], s[12:13], v[88:89]
	v_add_f64_e32 v[94:95], v[105:106], v[66:67]
	v_fma_f64 v[90:91], v[90:91], -0.5, v[125:126]
	v_add_f64_e64 v[105:106], v[78:79], -v[72:73]
	v_add_f64_e32 v[72:73], v[74:75], v[78:79]
	v_add_f64_e64 v[66:67], v[76:77], -v[70:71]
	v_fma_f64 v[78:79], v[92:93], s[0:1], v[103:104]
	v_fma_f64 v[88:89], v[92:93], s[2:3], v[88:89]
	v_add_f64_e32 v[94:95], v[94:95], v[70:71]
	v_fma_f64 v[70:71], v[101:102], s[12:13], v[90:91]
	v_add_f64_e32 v[68:69], v[68:69], v[105:106]
	s_delay_alu instid0(VALU_DEP_3)
	v_add_f64_e32 v[74:75], v[94:95], v[76:77]
	v_fma_f64 v[76:77], v[101:102], s[8:9], v[90:91]
	v_add_f64_e32 v[90:91], v[64:65], v[66:67]
	v_fma_f64 v[66:67], v[99:100], s[2:3], v[70:71]
	v_fma_f64 v[64:65], v[68:69], s[14:15], v[78:79]
	v_fma_f64 v[68:69], v[68:69], s[14:15], v[88:89]
	v_add_f64_e64 v[78:79], v[48:49], -v[62:63]
	v_fma_f64 v[70:71], v[99:100], s[0:1], v[76:77]
	scratch_load_b32 v76, off, off offset:888 th:TH_LOAD_LU ; 4-byte Folded Reload
	v_fma_f64 v[66:67], v[90:91], s[14:15], v[66:67]
	v_fma_f64 v[70:71], v[90:91], s[14:15], v[70:71]
	s_wait_loadcnt 0x0
	ds_store_b128 v76, v[72:75]
	ds_store_b128 v76, v[64:67] offset:208
	ds_store_b128 v76, v[80:83] offset:416
	;; [unrolled: 1-line block ×4, first 2 shown]
	v_add_f64_e64 v[64:65], v[52:53], -v[50:51]
	v_add_f64_e64 v[66:67], v[58:59], -v[60:61]
	;; [unrolled: 1-line block ×5, first 2 shown]
	s_delay_alu instid0(VALU_DEP_4) | instskip(SKIP_2) | instid1(VALU_DEP_1)
	v_add_f64_e32 v[68:69], v[64:65], v[66:67]
	v_add_f64_e64 v[64:65], v[54:55], -v[48:49]
	v_add_f64_e64 v[66:67], v[56:57], -v[62:63]
	v_add_f64_e32 v[70:71], v[64:65], v[66:67]
	v_add_f64_e32 v[64:65], v[50:51], v[60:61]
	s_delay_alu instid0(VALU_DEP_1) | instskip(SKIP_1) | instid1(VALU_DEP_1)
	v_fma_f64 v[72:73], v[64:65], -0.5, v[28:29]
	v_add_f64_e32 v[64:65], v[48:49], v[62:63]
	v_fma_f64 v[74:75], v[64:65], -0.5, v[30:31]
	s_delay_alu instid0(VALU_DEP_3) | instskip(SKIP_1) | instid1(VALU_DEP_3)
	v_fma_f64 v[64:65], v[76:77], s[12:13], v[72:73]
	v_fma_f64 v[72:73], v[76:77], s[8:9], v[72:73]
	;; [unrolled: 1-line block ×4, first 2 shown]
	s_delay_alu instid0(VALU_DEP_4) | instskip(NEXT) | instid1(VALU_DEP_4)
	v_fma_f64 v[64:65], v[78:79], s[0:1], v[64:65]
	v_fma_f64 v[72:73], v[78:79], s[2:3], v[72:73]
	s_delay_alu instid0(VALU_DEP_4) | instskip(NEXT) | instid1(VALU_DEP_4)
	v_fma_f64 v[66:67], v[82:83], s[2:3], v[66:67]
	v_fma_f64 v[74:75], v[82:83], s[0:1], v[74:75]
	;; [unrolled: 3-line block ×3, first 2 shown]
	v_add_f64_e32 v[72:73], v[52:53], v[58:59]
	v_fma_f64 v[66:67], v[70:71], s[14:15], v[66:67]
	v_fma_f64 v[70:71], v[70:71], s[14:15], v[74:75]
	v_add_f64_e32 v[74:75], v[54:55], v[56:57]
	s_delay_alu instid0(VALU_DEP_4) | instskip(SKIP_2) | instid1(VALU_DEP_4)
	v_fma_f64 v[72:73], v[72:73], -0.5, v[28:29]
	v_add_f64_e32 v[28:29], v[28:29], v[50:51]
	v_add_f64_e64 v[50:51], v[50:51], -v[52:53]
	v_fma_f64 v[74:75], v[74:75], -0.5, v[30:31]
	v_add_f64_e32 v[30:31], v[30:31], v[48:49]
	v_add_f64_e64 v[48:49], v[48:49], -v[54:55]
	v_add_f64_e32 v[28:29], v[28:29], v[52:53]
	v_add_f64_e64 v[52:53], v[60:61], -v[58:59]
	s_delay_alu instid0(VALU_DEP_4) | instskip(SKIP_1) | instid1(VALU_DEP_4)
	v_add_f64_e32 v[30:31], v[30:31], v[54:55]
	v_add_f64_e64 v[54:55], v[62:63], -v[56:57]
	v_add_f64_e32 v[28:29], v[28:29], v[58:59]
	v_fma_f64 v[58:59], v[78:79], s[12:13], v[72:73]
	v_add_f64_e32 v[52:53], v[50:51], v[52:53]
	v_add_f64_e32 v[30:31], v[30:31], v[56:57]
	v_fma_f64 v[56:57], v[78:79], s[8:9], v[72:73]
	v_add_f64_e32 v[54:55], v[48:49], v[54:55]
	;; [unrolled: 3-line block ×3, first 2 shown]
	v_fma_f64 v[48:49], v[76:77], s[0:1], v[56:57]
	v_fma_f64 v[56:57], v[76:77], s[2:3], v[58:59]
	;; [unrolled: 1-line block ×4, first 2 shown]
	v_add_f64_e64 v[60:61], v[42:43], -v[40:41]
	v_fma_f64 v[48:49], v[52:53], s[14:15], v[48:49]
	v_fma_f64 v[52:53], v[52:53], s[14:15], v[56:57]
	scratch_load_b32 v56, off, off offset:880 th:TH_LOAD_LU ; 4-byte Folded Reload
	v_fma_f64 v[58:59], v[80:81], s[0:1], v[62:63]
	v_fma_f64 v[50:51], v[54:55], s[14:15], v[50:51]
	v_add_f64_e64 v[62:63], v[36:37], -v[46:47]
	s_delay_alu instid0(VALU_DEP_3)
	v_fma_f64 v[54:55], v[54:55], s[14:15], v[58:59]
	s_wait_loadcnt 0x0
	ds_store_b128 v56, v[28:31]
	ds_store_b128 v56, v[48:51] offset:208
	ds_store_b128 v56, v[64:67] offset:416
	;; [unrolled: 1-line block ×4, first 2 shown]
	v_add_f64_e64 v[28:29], v[42:43], -v[36:37]
	v_add_f64_e64 v[30:31], v[40:41], -v[46:47]
	;; [unrolled: 1-line block ×4, first 2 shown]
	s_delay_alu instid0(VALU_DEP_3) | instskip(SKIP_2) | instid1(VALU_DEP_1)
	v_add_f64_e32 v[48:49], v[28:29], v[30:31]
	v_add_f64_e64 v[28:29], v[34:35], -v[32:33]
	v_add_f64_e64 v[30:31], v[38:39], -v[44:45]
	v_add_f64_e32 v[50:51], v[28:29], v[30:31]
	v_add_f64_e32 v[28:29], v[36:37], v[46:47]
	;; [unrolled: 1-line block ×3, first 2 shown]
	s_delay_alu instid0(VALU_DEP_2) | instskip(NEXT) | instid1(VALU_DEP_2)
	v_fma_f64 v[52:53], v[28:29], -0.5, v[24:25]
	v_fma_f64 v[58:59], v[30:31], -0.5, v[26:27]
	s_delay_alu instid0(VALU_DEP_2) | instskip(SKIP_1) | instid1(VALU_DEP_3)
	v_fma_f64 v[28:29], v[54:55], s[12:13], v[52:53]
	v_fma_f64 v[52:53], v[54:55], s[8:9], v[52:53]
	;; [unrolled: 1-line block ×4, first 2 shown]
	s_delay_alu instid0(VALU_DEP_4) | instskip(NEXT) | instid1(VALU_DEP_4)
	v_fma_f64 v[28:29], v[56:57], s[0:1], v[28:29]
	v_fma_f64 v[52:53], v[56:57], s[2:3], v[52:53]
	s_delay_alu instid0(VALU_DEP_4) | instskip(NEXT) | instid1(VALU_DEP_4)
	v_fma_f64 v[30:31], v[62:63], s[2:3], v[30:31]
	v_fma_f64 v[58:59], v[62:63], s[0:1], v[58:59]
	;; [unrolled: 3-line block ×3, first 2 shown]
	v_add_f64_e32 v[52:53], v[42:43], v[40:41]
	v_fma_f64 v[30:31], v[50:51], s[14:15], v[30:31]
	v_fma_f64 v[50:51], v[50:51], s[14:15], v[58:59]
	v_add_f64_e32 v[58:59], v[34:35], v[38:39]
	s_delay_alu instid0(VALU_DEP_4) | instskip(SKIP_2) | instid1(VALU_DEP_4)
	v_fma_f64 v[52:53], v[52:53], -0.5, v[24:25]
	v_add_f64_e32 v[24:25], v[24:25], v[36:37]
	v_add_f64_e64 v[36:37], v[36:37], -v[42:43]
	v_fma_f64 v[58:59], v[58:59], -0.5, v[26:27]
	v_add_f64_e32 v[26:27], v[26:27], v[32:33]
	v_add_f64_e64 v[32:33], v[32:33], -v[34:35]
	v_add_f64_e32 v[24:25], v[24:25], v[42:43]
	v_fma_f64 v[42:43], v[56:57], s[8:9], v[52:53]
	v_fma_f64 v[52:53], v[56:57], s[12:13], v[52:53]
	v_add_f64_e32 v[26:27], v[26:27], v[34:35]
	v_add_f64_e64 v[34:35], v[44:45], -v[38:39]
	v_add_f64_e32 v[24:25], v[24:25], v[40:41]
	v_add_f64_e64 v[40:41], v[46:47], -v[40:41]
	s_delay_alu instid0(VALU_DEP_4) | instskip(SKIP_1) | instid1(VALU_DEP_4)
	v_add_f64_e32 v[26:27], v[26:27], v[38:39]
	v_fma_f64 v[38:39], v[62:63], s[12:13], v[58:59]
	v_add_f64_e32 v[24:25], v[24:25], v[46:47]
	s_delay_alu instid0(VALU_DEP_4)
	v_add_f64_e32 v[36:37], v[36:37], v[40:41]
	v_fma_f64 v[40:41], v[54:55], s[0:1], v[42:43]
	v_add_f64_e32 v[46:47], v[32:33], v[34:35]
	v_add_f64_e32 v[26:27], v[26:27], v[44:45]
	v_fma_f64 v[44:45], v[62:63], s[8:9], v[58:59]
	v_fma_f64 v[34:35], v[60:61], s[2:3], v[38:39]
	;; [unrolled: 1-line block ×4, first 2 shown]
	scratch_load_b32 v40, off, off offset:876 th:TH_LOAD_LU ; 4-byte Folded Reload
	v_fma_f64 v[38:39], v[60:61], s[0:1], v[44:45]
	v_fma_f64 v[34:35], v[46:47], s[14:15], v[34:35]
	;; [unrolled: 1-line block ×3, first 2 shown]
	s_delay_alu instid0(VALU_DEP_3)
	v_fma_f64 v[38:39], v[46:47], s[14:15], v[38:39]
	s_wait_loadcnt 0x0
	ds_store_b128 v40, v[24:27]
	ds_store_b128 v40, v[32:35] offset:208
	ds_store_b128 v40, v[28:31] offset:416
	;; [unrolled: 1-line block ×4, first 2 shown]
	global_wb scope:SCOPE_SE
	s_wait_dscnt 0x0
	s_barrier_signal -1
	s_barrier_wait -1
	global_inv scope:SCOPE_SE
	ds_load_b128 v[24:27], v162 offset:5200
	s_wait_dscnt 0x0
	v_mul_f64_e32 v[28:29], v[166:167], v[26:27]
	s_delay_alu instid0(VALU_DEP_1) | instskip(SKIP_1) | instid1(VALU_DEP_1)
	v_fma_f64 v[60:61], v[164:165], v[24:25], v[28:29]
	v_mul_f64_e32 v[24:25], v[166:167], v[24:25]
	v_fma_f64 v[62:63], v[164:165], v[26:27], -v[24:25]
	ds_load_b128 v[24:27], v162 offset:6240
	s_wait_dscnt 0x0
	v_mul_f64_e32 v[28:29], v[166:167], v[26:27]
	s_delay_alu instid0(VALU_DEP_1) | instskip(SKIP_1) | instid1(VALU_DEP_1)
	v_fma_f64 v[80:81], v[164:165], v[24:25], v[28:29]
	v_mul_f64_e32 v[24:25], v[166:167], v[24:25]
	v_fma_f64 v[82:83], v[164:165], v[26:27], -v[24:25]
	;; [unrolled: 7-line block ×4, first 2 shown]
	ds_load_b128 v[24:27], v162 offset:15600
	s_wait_dscnt 0x0
	v_mul_f64_e32 v[28:29], v[226:227], v[26:27]
	s_delay_alu instid0(VALU_DEP_1) | instskip(SKIP_1) | instid1(VALU_DEP_2)
	v_fma_f64 v[68:69], v[224:225], v[24:25], v[28:29]
	v_mul_f64_e32 v[24:25], v[226:227], v[24:25]
	v_add_f64_e64 v[105:106], v[64:65], -v[68:69]
	s_delay_alu instid0(VALU_DEP_2) | instskip(SKIP_4) | instid1(VALU_DEP_2)
	v_fma_f64 v[70:71], v[224:225], v[26:27], -v[24:25]
	ds_load_b128 v[24:27], v162 offset:16640
	s_wait_dscnt 0x0
	v_mul_f64_e32 v[28:29], v[226:227], v[26:27]
	v_add_f64_e64 v[101:102], v[66:67], -v[70:71]
	v_fma_f64 v[88:89], v[224:225], v[24:25], v[28:29]
	v_mul_f64_e32 v[24:25], v[226:227], v[24:25]
	s_delay_alu instid0(VALU_DEP_2) | instskip(NEXT) | instid1(VALU_DEP_2)
	v_add_f64_e64 v[109:110], v[84:85], -v[88:89]
	v_fma_f64 v[90:91], v[224:225], v[26:27], -v[24:25]
	ds_load_b128 v[24:27], v162 offset:20800
	s_wait_dscnt 0x0
	v_mul_f64_e32 v[28:29], v[222:223], v[26:27]
	s_delay_alu instid0(VALU_DEP_1) | instskip(SKIP_1) | instid1(VALU_DEP_2)
	v_fma_f64 v[72:73], v[220:221], v[24:25], v[28:29]
	v_mul_f64_e32 v[24:25], v[222:223], v[24:25]
	v_add_f64_e64 v[103:104], v[60:61], -v[72:73]
	s_delay_alu instid0(VALU_DEP_2) | instskip(SKIP_4) | instid1(VALU_DEP_2)
	v_fma_f64 v[74:75], v[220:221], v[26:27], -v[24:25]
	ds_load_b128 v[24:27], v162 offset:21840
	s_wait_dscnt 0x0
	v_mul_f64_e32 v[28:29], v[222:223], v[26:27]
	v_add_f64_e64 v[99:100], v[62:63], -v[74:75]
	v_fma_f64 v[92:93], v[220:221], v[24:25], v[28:29]
	v_mul_f64_e32 v[24:25], v[222:223], v[24:25]
	s_delay_alu instid0(VALU_DEP_1) | instskip(SKIP_3) | instid1(VALU_DEP_1)
	v_fma_f64 v[94:95], v[220:221], v[26:27], -v[24:25]
	ds_load_b128 v[24:27], v162 offset:7280
	s_wait_dscnt 0x0
	v_mul_f64_e32 v[28:29], v[246:247], v[26:27]
	v_fma_f64 v[46:47], v[244:245], v[24:25], v[28:29]
	v_mul_f64_e32 v[24:25], v[246:247], v[24:25]
	s_delay_alu instid0(VALU_DEP_1) | instskip(SKIP_3) | instid1(VALU_DEP_1)
	v_fma_f64 v[44:45], v[244:245], v[26:27], -v[24:25]
	ds_load_b128 v[24:27], v162 offset:12480
	s_wait_dscnt 0x0
	v_mul_f64_e32 v[28:29], v[238:239], v[26:27]
	;; [unrolled: 7-line block ×4, first 2 shown]
	v_fma_f64 v[58:59], v[232:233], v[24:25], v[28:29]
	v_mul_f64_e32 v[24:25], v[234:235], v[24:25]
	s_delay_alu instid0(VALU_DEP_2) | instskip(NEXT) | instid1(VALU_DEP_2)
	v_add_f64_e64 v[113:114], v[46:47], -v[58:59]
	v_fma_f64 v[56:57], v[232:233], v[26:27], -v[24:25]
	ds_load_b128 v[24:27], v162 offset:8320
	s_wait_dscnt 0x0
	v_mul_f64_e32 v[28:29], v[6:7], v[26:27]
	v_mul_f64_e32 v[6:7], v[6:7], v[24:25]
	s_delay_alu instid0(VALU_DEP_2) | instskip(NEXT) | instid1(VALU_DEP_2)
	v_fma_f64 v[30:31], v[4:5], v[24:25], v[28:29]
	v_fma_f64 v[28:29], v[4:5], v[26:27], -v[6:7]
	ds_load_b128 v[4:7], v162 offset:13520
	s_wait_dscnt 0x0
	v_mul_f64_e32 v[24:25], v[2:3], v[6:7]
	v_mul_f64_e32 v[2:3], v[2:3], v[4:5]
	s_delay_alu instid0(VALU_DEP_2) | instskip(NEXT) | instid1(VALU_DEP_2)
	v_fma_f64 v[34:35], v[0:1], v[4:5], v[24:25]
	v_fma_f64 v[32:33], v[0:1], v[6:7], -v[2:3]
	ds_load_b128 v[0:3], v162 offset:18720
	s_wait_dscnt 0x0
	v_mul_f64_e32 v[4:5], v[254:255], v[2:3]
	s_delay_alu instid0(VALU_DEP_1) | instskip(SKIP_1) | instid1(VALU_DEP_1)
	v_fma_f64 v[38:39], v[252:253], v[0:1], v[4:5]
	v_mul_f64_e32 v[0:1], v[254:255], v[0:1]
	v_fma_f64 v[36:37], v[252:253], v[2:3], -v[0:1]
	ds_load_b128 v[0:3], v162 offset:23920
	s_wait_dscnt 0x0
	v_mul_f64_e32 v[4:5], v[250:251], v[2:3]
	s_delay_alu instid0(VALU_DEP_1) | instskip(SKIP_1) | instid1(VALU_DEP_1)
	v_fma_f64 v[42:43], v[248:249], v[0:1], v[4:5]
	v_mul_f64_e32 v[0:1], v[250:251], v[0:1]
	;; [unrolled: 7-line block ×5, first 2 shown]
	v_fma_f64 v[12:13], v[12:13], v[2:3], -v[0:1]
	ds_load_b128 v[0:3], v162 offset:24960
	s_wait_dscnt 0x0
	v_mul_f64_e32 v[4:5], v[10:11], v[2:3]
	s_delay_alu instid0(VALU_DEP_1) | instskip(SKIP_2) | instid1(VALU_DEP_2)
	v_fma_f64 v[26:27], v[8:9], v[0:1], v[4:5]
	v_mul_f64_e32 v[0:1], v[10:11], v[0:1]
	v_add_f64_e64 v[4:5], v[74:75], -v[70:71]
	v_fma_f64 v[14:15], v[8:9], v[2:3], -v[0:1]
	v_add_f64_e64 v[0:1], v[60:61], -v[64:65]
	v_add_f64_e64 v[2:3], v[72:73], -v[68:69]
	ds_load_b128 v[8:11], v162
	v_add_f64_e32 v[0:1], v[0:1], v[2:3]
	v_add_f64_e64 v[2:3], v[62:63], -v[66:67]
	s_delay_alu instid0(VALU_DEP_1) | instskip(SKIP_2) | instid1(VALU_DEP_1)
	v_add_f64_e32 v[2:3], v[2:3], v[4:5]
	v_add_f64_e32 v[4:5], v[64:65], v[68:69]
	s_wait_dscnt 0x0
	v_fma_f64 v[76:77], v[4:5], -0.5, v[8:9]
	v_add_f64_e32 v[4:5], v[66:67], v[70:71]
	s_delay_alu instid0(VALU_DEP_1) | instskip(NEXT) | instid1(VALU_DEP_3)
	v_fma_f64 v[78:79], v[4:5], -0.5, v[10:11]
	v_fma_f64 v[4:5], v[99:100], s[8:9], v[76:77]
	v_fma_f64 v[76:77], v[99:100], s[12:13], v[76:77]
	s_delay_alu instid0(VALU_DEP_3) | instskip(SKIP_1) | instid1(VALU_DEP_4)
	v_fma_f64 v[6:7], v[103:104], s[12:13], v[78:79]
	v_fma_f64 v[78:79], v[103:104], s[8:9], v[78:79]
	;; [unrolled: 1-line block ×3, first 2 shown]
	s_delay_alu instid0(VALU_DEP_4) | instskip(NEXT) | instid1(VALU_DEP_4)
	v_fma_f64 v[76:77], v[101:102], s[2:3], v[76:77]
	v_fma_f64 v[6:7], v[105:106], s[2:3], v[6:7]
	s_delay_alu instid0(VALU_DEP_4) | instskip(NEXT) | instid1(VALU_DEP_4)
	v_fma_f64 v[78:79], v[105:106], s[0:1], v[78:79]
	v_fma_f64 v[4:5], v[0:1], s[14:15], v[4:5]
	s_delay_alu instid0(VALU_DEP_4) | instskip(SKIP_4) | instid1(VALU_DEP_4)
	v_fma_f64 v[0:1], v[0:1], s[14:15], v[76:77]
	v_add_f64_e32 v[76:77], v[60:61], v[72:73]
	v_fma_f64 v[6:7], v[2:3], s[14:15], v[6:7]
	v_fma_f64 v[2:3], v[2:3], s[14:15], v[78:79]
	v_add_f64_e32 v[78:79], v[62:63], v[74:75]
	v_fma_f64 v[76:77], v[76:77], -0.5, v[8:9]
	v_add_f64_e32 v[8:9], v[8:9], v[60:61]
	v_add_f64_e64 v[60:61], v[64:65], -v[60:61]
	s_delay_alu instid0(VALU_DEP_4)
	v_fma_f64 v[78:79], v[78:79], -0.5, v[10:11]
	v_add_f64_e32 v[10:11], v[10:11], v[62:63]
	v_add_f64_e64 v[62:63], v[66:67], -v[62:63]
	v_add_f64_e32 v[8:9], v[8:9], v[64:65]
	v_add_f64_e64 v[64:65], v[68:69], -v[72:73]
	v_fma_f64 v[107:108], v[101:102], s[12:13], v[76:77]
	v_fma_f64 v[76:77], v[101:102], s[8:9], v[76:77]
	v_add_f64_e64 v[101:102], v[82:83], -v[94:95]
	v_add_f64_e32 v[10:11], v[10:11], v[66:67]
	v_add_f64_e64 v[66:67], v[70:71], -v[74:75]
	v_add_f64_e32 v[8:9], v[8:9], v[68:69]
	v_fma_f64 v[68:69], v[105:106], s[8:9], v[78:79]
	v_add_f64_e32 v[64:65], v[60:61], v[64:65]
	v_fma_f64 v[60:61], v[99:100], s[0:1], v[107:108]
	v_add_f64_e64 v[107:108], v[80:81], -v[92:93]
	v_add_f64_e32 v[10:11], v[10:11], v[70:71]
	v_fma_f64 v[70:71], v[105:106], s[12:13], v[78:79]
	v_add_f64_e32 v[66:67], v[62:63], v[66:67]
	v_fma_f64 v[62:63], v[103:104], s[2:3], v[68:69]
	;; [unrolled: 2-line block ×3, first 2 shown]
	v_fma_f64 v[60:61], v[64:65], s[14:15], v[60:61]
	v_add_f64_e32 v[10:11], v[10:11], v[74:75]
	v_fma_f64 v[68:69], v[103:104], s[0:1], v[70:71]
	v_add_f64_e64 v[70:71], v[92:93], -v[88:89]
	v_fma_f64 v[62:63], v[66:67], s[14:15], v[62:63]
	v_add_f64_e32 v[74:75], v[86:87], v[90:91]
	v_fma_f64 v[64:65], v[64:65], s[14:15], v[72:73]
	v_add_f64_e32 v[72:73], v[84:85], v[88:89]
	v_add_f64_e64 v[103:104], v[86:87], -v[90:91]
	v_fma_f64 v[66:67], v[66:67], s[14:15], v[68:69]
	v_add_f64_e64 v[68:69], v[80:81], -v[84:85]
	s_delay_alu instid0(VALU_DEP_1) | instskip(SKIP_2) | instid1(VALU_DEP_1)
	v_add_f64_e32 v[76:77], v[68:69], v[70:71]
	v_add_f64_e64 v[68:69], v[82:83], -v[86:87]
	v_add_f64_e64 v[70:71], v[94:95], -v[90:91]
	v_add_f64_e32 v[78:79], v[68:69], v[70:71]
	ds_load_b128 v[68:71], v162 offset:1040
	s_wait_dscnt 0x0
	v_fma_f64 v[99:100], v[72:73], -0.5, v[68:69]
	v_fma_f64 v[105:106], v[74:75], -0.5, v[70:71]
	s_delay_alu instid0(VALU_DEP_2) | instskip(NEXT) | instid1(VALU_DEP_2)
	v_fma_f64 v[72:73], v[101:102], s[8:9], v[99:100]
	v_fma_f64 v[74:75], v[107:108], s[12:13], v[105:106]
	;; [unrolled: 1-line block ×4, first 2 shown]
	s_delay_alu instid0(VALU_DEP_4) | instskip(NEXT) | instid1(VALU_DEP_4)
	v_fma_f64 v[72:73], v[103:104], s[0:1], v[72:73]
	v_fma_f64 v[74:75], v[109:110], s[2:3], v[74:75]
	s_delay_alu instid0(VALU_DEP_4) | instskip(NEXT) | instid1(VALU_DEP_4)
	v_fma_f64 v[99:100], v[103:104], s[2:3], v[99:100]
	v_fma_f64 v[105:106], v[109:110], s[0:1], v[105:106]
	;; [unrolled: 3-line block ×4, first 2 shown]
	v_add_f64_e32 v[99:100], v[80:81], v[92:93]
	v_add_f64_e32 v[105:106], v[82:83], v[94:95]
	s_delay_alu instid0(VALU_DEP_2) | instskip(NEXT) | instid1(VALU_DEP_2)
	v_fma_f64 v[99:100], v[99:100], -0.5, v[68:69]
	v_fma_f64 v[105:106], v[105:106], -0.5, v[70:71]
	v_add_f64_e32 v[68:69], v[68:69], v[80:81]
	v_add_f64_e32 v[70:71], v[70:71], v[82:83]
	v_add_f64_e64 v[80:81], v[84:85], -v[80:81]
	v_add_f64_e64 v[82:83], v[86:87], -v[82:83]
	v_fma_f64 v[111:112], v[103:104], s[12:13], v[99:100]
	v_fma_f64 v[99:100], v[103:104], s[8:9], v[99:100]
	v_add_f64_e32 v[68:69], v[68:69], v[84:85]
	v_add_f64_e32 v[70:71], v[70:71], v[86:87]
	v_add_f64_e64 v[84:85], v[88:89], -v[92:93]
	v_add_f64_e64 v[86:87], v[90:91], -v[94:95]
	s_delay_alu instid0(VALU_DEP_4) | instskip(NEXT) | instid1(VALU_DEP_4)
	v_add_f64_e32 v[68:69], v[68:69], v[88:89]
	v_add_f64_e32 v[70:71], v[70:71], v[90:91]
	v_fma_f64 v[88:89], v[109:110], s[8:9], v[105:106]
	v_fma_f64 v[90:91], v[109:110], s[12:13], v[105:106]
	v_add_f64_e32 v[86:87], v[82:83], v[86:87]
	v_add_f64_e32 v[84:85], v[80:81], v[84:85]
	v_fma_f64 v[80:81], v[101:102], s[0:1], v[111:112]
	v_add_f64_e64 v[109:110], v[44:45], -v[56:57]
	v_add_f64_e64 v[111:112], v[50:51], -v[54:55]
	v_add_f64_e32 v[68:69], v[68:69], v[92:93]
	v_fma_f64 v[92:93], v[101:102], s[2:3], v[99:100]
	v_fma_f64 v[82:83], v[107:108], s[2:3], v[88:89]
	;; [unrolled: 1-line block ×3, first 2 shown]
	v_add_f64_e64 v[90:91], v[54:55], -v[58:59]
	v_add_f64_e64 v[107:108], v[48:49], -v[52:53]
	v_fma_f64 v[80:81], v[84:85], s[14:15], v[80:81]
	v_add_f64_e32 v[70:71], v[70:71], v[94:95]
	v_fma_f64 v[84:85], v[84:85], s[14:15], v[92:93]
	v_fma_f64 v[82:83], v[86:87], s[14:15], v[82:83]
	;; [unrolled: 1-line block ×3, first 2 shown]
	v_add_f64_e64 v[88:89], v[50:51], -v[46:47]
	v_add_f64_e32 v[92:93], v[46:47], v[58:59]
	s_delay_alu instid0(VALU_DEP_2) | instskip(SKIP_2) | instid1(VALU_DEP_1)
	v_add_f64_e32 v[99:100], v[88:89], v[90:91]
	v_add_f64_e64 v[88:89], v[48:49], -v[44:45]
	v_add_f64_e64 v[90:91], v[52:53], -v[56:57]
	v_add_f64_e32 v[101:102], v[88:89], v[90:91]
	ds_load_b128 v[88:91], v162 offset:2080
	s_wait_dscnt 0x0
	v_fma_f64 v[103:104], v[92:93], -0.5, v[88:89]
	v_add_f64_e32 v[92:93], v[44:45], v[56:57]
	s_delay_alu instid0(VALU_DEP_1) | instskip(NEXT) | instid1(VALU_DEP_3)
	v_fma_f64 v[105:106], v[92:93], -0.5, v[90:91]
	v_fma_f64 v[92:93], v[107:108], s[12:13], v[103:104]
	v_fma_f64 v[103:104], v[107:108], s[8:9], v[103:104]
	s_delay_alu instid0(VALU_DEP_3) | instskip(NEXT) | instid1(VALU_DEP_3)
	v_fma_f64 v[94:95], v[111:112], s[8:9], v[105:106]
	v_fma_f64 v[92:93], v[109:110], s[0:1], v[92:93]
	;; [unrolled: 1-line block ×3, first 2 shown]
	s_delay_alu instid0(VALU_DEP_4) | instskip(NEXT) | instid1(VALU_DEP_4)
	v_fma_f64 v[103:104], v[109:110], s[2:3], v[103:104]
	v_fma_f64 v[94:95], v[113:114], s[2:3], v[94:95]
	s_delay_alu instid0(VALU_DEP_4) | instskip(NEXT) | instid1(VALU_DEP_4)
	v_fma_f64 v[92:93], v[99:100], s[14:15], v[92:93]
	v_fma_f64 v[105:106], v[113:114], s[0:1], v[105:106]
	s_delay_alu instid0(VALU_DEP_4) | instskip(SKIP_2) | instid1(VALU_DEP_4)
	v_fma_f64 v[99:100], v[99:100], s[14:15], v[103:104]
	v_add_f64_e32 v[103:104], v[50:51], v[54:55]
	v_fma_f64 v[94:95], v[101:102], s[14:15], v[94:95]
	v_fma_f64 v[101:102], v[101:102], s[14:15], v[105:106]
	v_add_f64_e32 v[105:106], v[48:49], v[52:53]
	s_delay_alu instid0(VALU_DEP_4) | instskip(SKIP_2) | instid1(VALU_DEP_4)
	v_fma_f64 v[103:104], v[103:104], -0.5, v[88:89]
	v_add_f64_e32 v[88:89], v[88:89], v[46:47]
	v_add_f64_e64 v[46:47], v[46:47], -v[50:51]
	v_fma_f64 v[105:106], v[105:106], -0.5, v[90:91]
	v_add_f64_e32 v[90:91], v[90:91], v[44:45]
	s_delay_alu instid0(VALU_DEP_4)
	v_add_f64_e32 v[50:51], v[88:89], v[50:51]
	v_fma_f64 v[115:116], v[109:110], s[8:9], v[103:104]
	v_fma_f64 v[103:104], v[109:110], s[12:13], v[103:104]
	v_add_f64_e64 v[44:45], v[44:45], -v[48:49]
	v_add_f64_e32 v[88:89], v[90:91], v[48:49]
	v_add_f64_e32 v[50:51], v[50:51], v[54:55]
	v_add_f64_e64 v[54:55], v[58:59], -v[54:55]
	v_add_f64_e64 v[48:49], v[56:57], -v[52:53]
	s_delay_alu instid0(VALU_DEP_4) | instskip(NEXT) | instid1(VALU_DEP_4)
	v_add_f64_e32 v[90:91], v[88:89], v[52:53]
	v_add_f64_e32 v[88:89], v[50:51], v[58:59]
	v_fma_f64 v[50:51], v[113:114], s[12:13], v[105:106]
	v_fma_f64 v[52:53], v[113:114], s[8:9], v[105:106]
	v_add_f64_e32 v[54:55], v[46:47], v[54:55]
	v_fma_f64 v[46:47], v[107:108], s[0:1], v[115:116]
	v_add_f64_e32 v[58:59], v[44:45], v[48:49]
	v_add_f64_e32 v[90:91], v[90:91], v[56:57]
	v_fma_f64 v[56:57], v[107:108], s[2:3], v[103:104]
	v_fma_f64 v[48:49], v[111:112], s[2:3], v[50:51]
	;; [unrolled: 1-line block ×4, first 2 shown]
	s_delay_alu instid0(VALU_DEP_3) | instskip(SKIP_1) | instid1(VALU_DEP_4)
	v_fma_f64 v[46:47], v[58:59], s[14:15], v[48:49]
	v_fma_f64 v[48:49], v[54:55], s[14:15], v[56:57]
	;; [unrolled: 1-line block ×3, first 2 shown]
	ds_load_b128 v[52:55], v162 offset:4160
	ds_load_b128 v[56:59], v162 offset:3120
	global_wb scope:SCOPE_SE
	s_wait_dscnt 0x0
	s_barrier_signal -1
	s_barrier_wait -1
	global_inv scope:SCOPE_SE
	ds_store_b128 v162, v[8:11]
	ds_store_b128 v162, v[4:7] offset:1040
	ds_store_b128 v162, v[60:63] offset:2080
	;; [unrolled: 1-line block ×9, first 2 shown]
	scratch_load_b32 v0, off, off offset:872 th:TH_LOAD_LU ; 4-byte Folded Reload
	v_add_f64_e64 v[2:3], v[38:39], -v[42:43]
	s_wait_loadcnt 0x0
	ds_store_b128 v0, v[88:91] offset:10400
	ds_store_b128 v0, v[44:47] offset:11440
	;; [unrolled: 1-line block ×5, first 2 shown]
	v_add_f64_e64 v[0:1], v[34:35], -v[30:31]
	v_add_f64_e64 v[44:45], v[32:33], -v[36:37]
	;; [unrolled: 1-line block ×5, first 2 shown]
	v_add_f64_e32 v[4:5], v[0:1], v[2:3]
	v_add_f64_e64 v[0:1], v[32:33], -v[28:29]
	v_add_f64_e64 v[2:3], v[36:37], -v[40:41]
	s_delay_alu instid0(VALU_DEP_1) | instskip(SKIP_1) | instid1(VALU_DEP_1)
	v_add_f64_e32 v[6:7], v[0:1], v[2:3]
	v_add_f64_e32 v[0:1], v[30:31], v[42:43]
	v_fma_f64 v[8:9], v[0:1], -0.5, v[56:57]
	v_add_f64_e32 v[0:1], v[28:29], v[40:41]
	s_delay_alu instid0(VALU_DEP_1) | instskip(NEXT) | instid1(VALU_DEP_3)
	v_fma_f64 v[10:11], v[0:1], -0.5, v[58:59]
	v_fma_f64 v[0:1], v[44:45], s[12:13], v[8:9]
	v_fma_f64 v[8:9], v[44:45], s[8:9], v[8:9]
	s_delay_alu instid0(VALU_DEP_3) | instskip(SKIP_1) | instid1(VALU_DEP_4)
	v_fma_f64 v[2:3], v[48:49], s[8:9], v[10:11]
	v_fma_f64 v[10:11], v[48:49], s[12:13], v[10:11]
	;; [unrolled: 1-line block ×3, first 2 shown]
	s_delay_alu instid0(VALU_DEP_4) | instskip(NEXT) | instid1(VALU_DEP_4)
	v_fma_f64 v[8:9], v[46:47], s[2:3], v[8:9]
	v_fma_f64 v[2:3], v[50:51], s[2:3], v[2:3]
	s_delay_alu instid0(VALU_DEP_4) | instskip(NEXT) | instid1(VALU_DEP_4)
	v_fma_f64 v[10:11], v[50:51], s[0:1], v[10:11]
	v_fma_f64 v[0:1], v[4:5], s[14:15], v[0:1]
	s_delay_alu instid0(VALU_DEP_4) | instskip(SKIP_4) | instid1(VALU_DEP_4)
	v_fma_f64 v[4:5], v[4:5], s[14:15], v[8:9]
	v_add_f64_e32 v[8:9], v[34:35], v[38:39]
	v_fma_f64 v[2:3], v[6:7], s[14:15], v[2:3]
	v_fma_f64 v[6:7], v[6:7], s[14:15], v[10:11]
	v_add_f64_e32 v[10:11], v[32:33], v[36:37]
	v_fma_f64 v[8:9], v[8:9], -0.5, v[56:57]
	s_delay_alu instid0(VALU_DEP_2) | instskip(SKIP_2) | instid1(VALU_DEP_4)
	v_fma_f64 v[60:61], v[10:11], -0.5, v[58:59]
	v_add_f64_e32 v[10:11], v[56:57], v[30:31]
	v_add_f64_e32 v[56:57], v[58:59], v[28:29]
	v_fma_f64 v[58:59], v[46:47], s[8:9], v[8:9]
	v_fma_f64 v[46:47], v[46:47], s[12:13], v[8:9]
	v_add_f64_e64 v[30:31], v[30:31], -v[34:35]
	v_add_f64_e64 v[28:29], v[28:29], -v[32:33]
	v_add_f64_e32 v[8:9], v[10:11], v[34:35]
	v_add_f64_e32 v[10:11], v[56:57], v[32:33]
	v_add_f64_e64 v[34:35], v[42:43], -v[38:39]
	v_add_f64_e64 v[32:33], v[40:41], -v[36:37]
	s_delay_alu instid0(VALU_DEP_4) | instskip(NEXT) | instid1(VALU_DEP_4)
	v_add_f64_e32 v[8:9], v[8:9], v[38:39]
	v_add_f64_e32 v[10:11], v[10:11], v[36:37]
	v_fma_f64 v[36:37], v[50:51], s[12:13], v[60:61]
	v_fma_f64 v[38:39], v[50:51], s[8:9], v[60:61]
	v_add_f64_e32 v[34:35], v[30:31], v[34:35]
	v_fma_f64 v[30:31], v[44:45], s[0:1], v[58:59]
	v_add_f64_e32 v[8:9], v[8:9], v[42:43]
	v_add_f64_e32 v[10:11], v[10:11], v[40:41]
	v_fma_f64 v[40:41], v[44:45], s[2:3], v[46:47]
	v_add_f64_e32 v[42:43], v[28:29], v[32:33]
	v_fma_f64 v[32:33], v[48:49], s[2:3], v[36:37]
	v_fma_f64 v[36:37], v[48:49], s[0:1], v[38:39]
	;; [unrolled: 1-line block ×3, first 2 shown]
	s_delay_alu instid0(VALU_DEP_3) | instskip(SKIP_1) | instid1(VALU_DEP_4)
	v_fma_f64 v[30:31], v[42:43], s[14:15], v[32:33]
	v_fma_f64 v[32:33], v[34:35], s[14:15], v[40:41]
	;; [unrolled: 1-line block ×3, first 2 shown]
	scratch_load_b32 v36, off, off offset:836 th:TH_LOAD_LU ; 4-byte Folded Reload
	s_wait_loadcnt 0x0
	ds_store_b128 v36, v[8:11] offset:15600
	ds_store_b128 v36, v[28:31] offset:16640
	;; [unrolled: 1-line block ×5, first 2 shown]
	v_add_f64_e64 v[0:1], v[22:23], -v[24:25]
	v_add_f64_e64 v[2:3], v[18:19], -v[26:27]
	;; [unrolled: 1-line block ×6, first 2 shown]
	v_add_f64_e32 v[4:5], v[0:1], v[2:3]
	v_add_f64_e64 v[0:1], v[16:17], -v[20:21]
	v_add_f64_e64 v[2:3], v[12:13], -v[14:15]
	s_delay_alu instid0(VALU_DEP_1) | instskip(SKIP_1) | instid1(VALU_DEP_1)
	v_add_f64_e32 v[6:7], v[0:1], v[2:3]
	v_add_f64_e32 v[0:1], v[24:25], v[26:27]
	v_fma_f64 v[8:9], v[0:1], -0.5, v[52:53]
	v_add_f64_e32 v[0:1], v[20:21], v[14:15]
	s_delay_alu instid0(VALU_DEP_1) | instskip(NEXT) | instid1(VALU_DEP_3)
	v_fma_f64 v[10:11], v[0:1], -0.5, v[54:55]
	v_fma_f64 v[0:1], v[28:29], s[12:13], v[8:9]
	v_fma_f64 v[8:9], v[28:29], s[8:9], v[8:9]
	s_delay_alu instid0(VALU_DEP_3) | instskip(NEXT) | instid1(VALU_DEP_3)
	v_fma_f64 v[2:3], v[32:33], s[8:9], v[10:11]
	v_fma_f64 v[0:1], v[30:31], s[0:1], v[0:1]
	s_delay_alu instid0(VALU_DEP_3) | instskip(SKIP_1) | instid1(VALU_DEP_4)
	v_fma_f64 v[8:9], v[30:31], s[2:3], v[8:9]
	v_fma_f64 v[10:11], v[32:33], s[12:13], v[10:11]
	v_fma_f64 v[2:3], v[34:35], s[2:3], v[2:3]
	s_delay_alu instid0(VALU_DEP_4) | instskip(NEXT) | instid1(VALU_DEP_4)
	v_fma_f64 v[0:1], v[4:5], s[14:15], v[0:1]
	v_fma_f64 v[4:5], v[4:5], s[14:15], v[8:9]
	v_add_f64_e32 v[8:9], v[22:23], v[18:19]
	v_fma_f64 v[10:11], v[34:35], s[0:1], v[10:11]
	v_fma_f64 v[2:3], v[6:7], s[14:15], v[2:3]
	s_delay_alu instid0(VALU_DEP_3) | instskip(SKIP_1) | instid1(VALU_DEP_4)
	v_fma_f64 v[36:37], v[8:9], -0.5, v[52:53]
	v_add_f64_e32 v[8:9], v[16:17], v[12:13]
	v_fma_f64 v[6:7], v[6:7], s[14:15], v[10:11]
	v_add_f64_e32 v[10:11], v[54:55], v[20:21]
	s_delay_alu instid0(VALU_DEP_3) | instskip(SKIP_2) | instid1(VALU_DEP_4)
	v_fma_f64 v[38:39], v[8:9], -0.5, v[54:55]
	v_add_f64_e32 v[8:9], v[52:53], v[24:25]
	v_add_f64_e64 v[24:25], v[24:25], -v[22:23]
	v_add_f64_e32 v[10:11], v[10:11], v[16:17]
	v_add_f64_e64 v[16:17], v[20:21], -v[16:17]
	v_fma_f64 v[20:21], v[30:31], s[8:9], v[36:37]
	v_add_f64_e32 v[8:9], v[8:9], v[22:23]
	v_fma_f64 v[22:23], v[30:31], s[12:13], v[36:37]
	v_add_f64_e32 v[10:11], v[10:11], v[12:13]
	v_add_f64_e64 v[12:13], v[14:15], -v[12:13]
	v_fma_f64 v[20:21], v[28:29], s[0:1], v[20:21]
	v_add_f64_e32 v[8:9], v[8:9], v[18:19]
	v_add_f64_e64 v[18:19], v[26:27], -v[18:19]
	v_add_f64_e32 v[10:11], v[10:11], v[14:15]
	v_fma_f64 v[14:15], v[34:35], s[12:13], v[38:39]
	v_fma_f64 v[22:23], v[28:29], s[2:3], v[22:23]
	v_add_f64_e32 v[8:9], v[8:9], v[26:27]
	v_add_f64_e32 v[18:19], v[24:25], v[18:19]
	;; [unrolled: 1-line block ×3, first 2 shown]
	v_fma_f64 v[26:27], v[34:35], s[8:9], v[38:39]
	v_fma_f64 v[14:15], v[32:33], s[2:3], v[14:15]
	s_delay_alu instid0(VALU_DEP_4) | instskip(SKIP_4) | instid1(VALU_DEP_3)
	v_fma_f64 v[12:13], v[18:19], s[14:15], v[20:21]
	scratch_load_b32 v20, off, off offset:768 th:TH_LOAD_LU ; 4-byte Folded Reload
	v_fma_f64 v[26:27], v[32:33], s[0:1], v[26:27]
	v_fma_f64 v[14:15], v[24:25], s[14:15], v[14:15]
	;; [unrolled: 1-line block ×4, first 2 shown]
	s_wait_loadcnt 0x0
	ds_store_b128 v20, v[8:11] offset:20800
	ds_store_b128 v20, v[12:15] offset:21840
	;; [unrolled: 1-line block ×5, first 2 shown]
	global_wb scope:SCOPE_SE
	s_wait_dscnt 0x0
	s_barrier_signal -1
	s_barrier_wait -1
	global_inv scope:SCOPE_SE
	scratch_load_b128 v[6:9], off, off offset:856 th:TH_LOAD_LU ; 16-byte Folded Reload
	ds_load_b128 v[0:3], v162 offset:10400
	s_clause 0x4
	scratch_load_b128 v[14:17], off, off offset:640 th:TH_LOAD_LU
	scratch_load_b128 v[24:27], off, off offset:592 th:TH_LOAD_LU
	;; [unrolled: 1-line block ×5, first 2 shown]
	s_wait_loadcnt_dscnt 0x500
	v_mul_f64_e32 v[4:5], v[8:9], v[2:3]
	s_delay_alu instid0(VALU_DEP_1) | instskip(SKIP_1) | instid1(VALU_DEP_1)
	v_fma_f64 v[72:73], v[6:7], v[0:1], v[4:5]
	v_mul_f64_e32 v[0:1], v[8:9], v[0:1]
	v_fma_f64 v[76:77], v[6:7], v[2:3], -v[0:1]
	scratch_load_b128 v[6:9], off, off offset:772 th:TH_LOAD_LU ; 16-byte Folded Reload
	ds_load_b128 v[0:3], v162 offset:15600
	s_wait_dscnt 0x0
	v_mul_f64_e32 v[4:5], v[218:219], v[2:3]
	s_delay_alu instid0(VALU_DEP_1) | instskip(SKIP_1) | instid1(VALU_DEP_2)
	v_fma_f64 v[78:79], v[216:217], v[0:1], v[4:5]
	v_mul_f64_e32 v[0:1], v[218:219], v[0:1]
	v_add_f64_e64 v[105:106], v[72:73], -v[78:79]
	s_delay_alu instid0(VALU_DEP_2) | instskip(SKIP_4) | instid1(VALU_DEP_1)
	v_fma_f64 v[74:75], v[216:217], v[2:3], -v[0:1]
	ds_load_b128 v[0:3], v162 offset:5200
	v_add_f64_e64 v[101:102], v[76:77], -v[74:75]
	s_wait_loadcnt_dscnt 0x0
	v_mul_f64_e32 v[4:5], v[8:9], v[2:3]
	v_fma_f64 v[84:85], v[6:7], v[0:1], v[4:5]
	v_mul_f64_e32 v[0:1], v[8:9], v[0:1]
	s_delay_alu instid0(VALU_DEP_1) | instskip(SKIP_4) | instid1(VALU_DEP_1)
	v_fma_f64 v[86:87], v[6:7], v[2:3], -v[0:1]
	scratch_load_b128 v[6:9], off, off offset:840 th:TH_LOAD_LU ; 16-byte Folded Reload
	ds_load_b128 v[0:3], v162 offset:20800
	s_wait_loadcnt_dscnt 0x0
	v_mul_f64_e32 v[4:5], v[8:9], v[2:3]
	v_fma_f64 v[88:89], v[6:7], v[0:1], v[4:5]
	v_mul_f64_e32 v[0:1], v[8:9], v[0:1]
	s_delay_alu instid0(VALU_DEP_2) | instskip(NEXT) | instid1(VALU_DEP_2)
	v_add_f64_e64 v[103:104], v[84:85], -v[88:89]
	v_fma_f64 v[90:91], v[6:7], v[2:3], -v[0:1]
	scratch_load_b128 v[6:9], off, off offset:720 th:TH_LOAD_LU ; 16-byte Folded Reload
	ds_load_b128 v[0:3], v162 offset:6240
	v_add_f64_e64 v[99:100], v[86:87], -v[90:91]
	s_wait_loadcnt_dscnt 0x0
	v_mul_f64_e32 v[4:5], v[8:9], v[2:3]
	s_delay_alu instid0(VALU_DEP_1) | instskip(SKIP_1) | instid1(VALU_DEP_1)
	v_fma_f64 v[52:53], v[6:7], v[0:1], v[4:5]
	v_mul_f64_e32 v[0:1], v[8:9], v[0:1]
	v_fma_f64 v[54:55], v[6:7], v[2:3], -v[0:1]
	scratch_load_b128 v[6:9], off, off offset:704 th:TH_LOAD_LU ; 16-byte Folded Reload
	ds_load_b128 v[0:3], v162 offset:11440
	s_wait_loadcnt_dscnt 0x0
	v_mul_f64_e32 v[4:5], v[8:9], v[2:3]
	s_delay_alu instid0(VALU_DEP_1) | instskip(SKIP_1) | instid1(VALU_DEP_1)
	v_fma_f64 v[60:61], v[6:7], v[0:1], v[4:5]
	v_mul_f64_e32 v[0:1], v[8:9], v[0:1]
	v_fma_f64 v[62:63], v[6:7], v[2:3], -v[0:1]
	scratch_load_b128 v[6:9], off, off offset:688 th:TH_LOAD_LU ; 16-byte Folded Reload
	ds_load_b128 v[0:3], v162 offset:16640
	s_wait_loadcnt_dscnt 0x0
	v_mul_f64_e32 v[4:5], v[8:9], v[2:3]
	s_delay_alu instid0(VALU_DEP_1) | instskip(SKIP_1) | instid1(VALU_DEP_2)
	v_fma_f64 v[64:65], v[6:7], v[0:1], v[4:5]
	v_mul_f64_e32 v[0:1], v[8:9], v[0:1]
	v_add_f64_e64 v[109:110], v[60:61], -v[64:65]
	s_delay_alu instid0(VALU_DEP_2) | instskip(SKIP_4) | instid1(VALU_DEP_1)
	v_fma_f64 v[66:67], v[6:7], v[2:3], -v[0:1]
	scratch_load_b128 v[6:9], off, off offset:672 th:TH_LOAD_LU ; 16-byte Folded Reload
	ds_load_b128 v[0:3], v162 offset:21840
	s_wait_loadcnt_dscnt 0x0
	v_mul_f64_e32 v[4:5], v[8:9], v[2:3]
	v_fma_f64 v[68:69], v[6:7], v[0:1], v[4:5]
	v_mul_f64_e32 v[0:1], v[8:9], v[0:1]
	s_delay_alu instid0(VALU_DEP_2) | instskip(NEXT) | instid1(VALU_DEP_2)
	v_add_f64_e64 v[107:108], v[52:53], -v[68:69]
	v_fma_f64 v[70:71], v[6:7], v[2:3], -v[0:1]
	scratch_load_b128 v[6:9], off, off offset:788 th:TH_LOAD_LU ; 16-byte Folded Reload
	ds_load_b128 v[0:3], v162 offset:7280
	s_wait_loadcnt_dscnt 0x0
	v_mul_f64_e32 v[4:5], v[8:9], v[2:3]
	s_delay_alu instid0(VALU_DEP_1) | instskip(SKIP_1) | instid1(VALU_DEP_1)
	v_fma_f64 v[36:37], v[6:7], v[0:1], v[4:5]
	v_mul_f64_e32 v[0:1], v[8:9], v[0:1]
	v_fma_f64 v[34:35], v[6:7], v[2:3], -v[0:1]
	scratch_load_b128 v[6:9], off, off offset:820 th:TH_LOAD_LU ; 16-byte Folded Reload
	ds_load_b128 v[0:3], v162 offset:12480
	s_wait_loadcnt_dscnt 0x0
	v_mul_f64_e32 v[4:5], v[8:9], v[2:3]
	s_delay_alu instid0(VALU_DEP_1) | instskip(SKIP_1) | instid1(VALU_DEP_1)
	v_fma_f64 v[46:47], v[6:7], v[0:1], v[4:5]
	v_mul_f64_e32 v[0:1], v[8:9], v[0:1]
	;; [unrolled: 8-line block ×3, first 2 shown]
	v_fma_f64 v[50:51], v[6:7], v[2:3], -v[0:1]
	scratch_load_b128 v[6:9], off, off offset:752 th:TH_LOAD_LU ; 16-byte Folded Reload
	ds_load_b128 v[0:3], v162 offset:22880
	s_wait_loadcnt_dscnt 0x0
	v_mul_f64_e32 v[4:5], v[8:9], v[2:3]
	s_delay_alu instid0(VALU_DEP_1) | instskip(SKIP_1) | instid1(VALU_DEP_2)
	v_fma_f64 v[56:57], v[6:7], v[0:1], v[4:5]
	v_mul_f64_e32 v[0:1], v[8:9], v[0:1]
	v_add_f64_e64 v[113:114], v[36:37], -v[56:57]
	s_delay_alu instid0(VALU_DEP_2) | instskip(SKIP_4) | instid1(VALU_DEP_1)
	v_fma_f64 v[58:59], v[6:7], v[2:3], -v[0:1]
	scratch_load_b128 v[6:9], off, off offset:804 th:TH_LOAD_LU ; 16-byte Folded Reload
	ds_load_b128 v[0:3], v162 offset:8320
	s_wait_loadcnt_dscnt 0x0
	v_mul_f64_e32 v[4:5], v[8:9], v[2:3]
	v_fma_f64 v[10:11], v[6:7], v[0:1], v[4:5]
	v_mul_f64_e32 v[0:1], v[8:9], v[0:1]
	s_delay_alu instid0(VALU_DEP_1) | instskip(SKIP_3) | instid1(VALU_DEP_1)
	v_fma_f64 v[8:9], v[6:7], v[2:3], -v[0:1]
	ds_load_b128 v[0:3], v162 offset:13520
	s_wait_dscnt 0x0
	v_mul_f64_e32 v[4:5], v[16:17], v[2:3]
	v_fma_f64 v[12:13], v[14:15], v[0:1], v[4:5]
	v_mul_f64_e32 v[0:1], v[16:17], v[0:1]
	s_delay_alu instid0(VALU_DEP_1) | instskip(SKIP_4) | instid1(VALU_DEP_1)
	v_fma_f64 v[18:19], v[14:15], v[2:3], -v[0:1]
	scratch_load_b128 v[14:17], off, off offset:656 th:TH_LOAD_LU ; 16-byte Folded Reload
	ds_load_b128 v[0:3], v162 offset:18720
	s_wait_loadcnt_dscnt 0x0
	v_mul_f64_e32 v[4:5], v[16:17], v[2:3]
	v_fma_f64 v[20:21], v[14:15], v[0:1], v[4:5]
	v_mul_f64_e32 v[0:1], v[16:17], v[0:1]
	s_delay_alu instid0(VALU_DEP_1) | instskip(SKIP_3) | instid1(VALU_DEP_1)
	v_fma_f64 v[16:17], v[14:15], v[2:3], -v[0:1]
	ds_load_b128 v[0:3], v162 offset:23920
	s_wait_dscnt 0x0
	v_mul_f64_e32 v[4:5], v[26:27], v[2:3]
	v_fma_f64 v[22:23], v[24:25], v[0:1], v[4:5]
	v_mul_f64_e32 v[0:1], v[26:27], v[0:1]
	s_delay_alu instid0(VALU_DEP_1) | instskip(SKIP_4) | instid1(VALU_DEP_1)
	v_fma_f64 v[44:45], v[24:25], v[2:3], -v[0:1]
	scratch_load_b128 v[24:27], off, off offset:496 th:TH_LOAD_LU ; 16-byte Folded Reload
	ds_load_b128 v[0:3], v162 offset:9360
	s_wait_loadcnt_dscnt 0x0
	v_mul_f64_e32 v[4:5], v[26:27], v[2:3]
	v_fma_f64 v[14:15], v[24:25], v[0:1], v[4:5]
	v_mul_f64_e32 v[0:1], v[26:27], v[0:1]
	s_delay_alu instid0(VALU_DEP_1) | instskip(SKIP_3) | instid1(VALU_DEP_1)
	v_fma_f64 v[24:25], v[24:25], v[2:3], -v[0:1]
	ds_load_b128 v[0:3], v162 offset:14560
	s_wait_dscnt 0x0
	v_mul_f64_e32 v[4:5], v[32:33], v[2:3]
	v_fma_f64 v[28:29], v[30:31], v[0:1], v[4:5]
	v_mul_f64_e32 v[0:1], v[32:33], v[0:1]
	s_delay_alu instid0(VALU_DEP_1) | instskip(SKIP_3) | instid1(VALU_DEP_1)
	v_fma_f64 v[26:27], v[30:31], v[2:3], -v[0:1]
	ds_load_b128 v[0:3], v162 offset:19760
	s_wait_dscnt 0x0
	;; [unrolled: 7-line block ×3, first 2 shown]
	v_mul_f64_e32 v[4:5], v[82:83], v[2:3]
	v_fma_f64 v[38:39], v[80:81], v[0:1], v[4:5]
	v_mul_f64_e32 v[0:1], v[82:83], v[0:1]
	v_add_f64_e64 v[4:5], v[90:91], -v[74:75]
	s_delay_alu instid0(VALU_DEP_2)
	v_fma_f64 v[40:41], v[80:81], v[2:3], -v[0:1]
	v_add_f64_e64 v[0:1], v[84:85], -v[72:73]
	v_add_f64_e64 v[2:3], v[88:89], -v[78:79]
	ds_load_b128 v[80:83], v162
	v_add_f64_e32 v[0:1], v[0:1], v[2:3]
	v_add_f64_e64 v[2:3], v[86:87], -v[76:77]
	s_delay_alu instid0(VALU_DEP_1) | instskip(SKIP_2) | instid1(VALU_DEP_1)
	v_add_f64_e32 v[2:3], v[2:3], v[4:5]
	v_add_f64_e32 v[4:5], v[72:73], v[78:79]
	s_wait_dscnt 0x0
	v_fma_f64 v[92:93], v[4:5], -0.5, v[80:81]
	v_add_f64_e32 v[4:5], v[76:77], v[74:75]
	s_delay_alu instid0(VALU_DEP_1) | instskip(NEXT) | instid1(VALU_DEP_3)
	v_fma_f64 v[94:95], v[4:5], -0.5, v[82:83]
	v_fma_f64 v[4:5], v[99:100], s[8:9], v[92:93]
	v_fma_f64 v[92:93], v[99:100], s[12:13], v[92:93]
	s_delay_alu instid0(VALU_DEP_3) | instskip(SKIP_1) | instid1(VALU_DEP_4)
	v_fma_f64 v[6:7], v[103:104], s[12:13], v[94:95]
	v_fma_f64 v[94:95], v[103:104], s[8:9], v[94:95]
	;; [unrolled: 1-line block ×3, first 2 shown]
	s_delay_alu instid0(VALU_DEP_4) | instskip(NEXT) | instid1(VALU_DEP_4)
	v_fma_f64 v[92:93], v[101:102], s[2:3], v[92:93]
	v_fma_f64 v[6:7], v[105:106], s[2:3], v[6:7]
	s_delay_alu instid0(VALU_DEP_4) | instskip(NEXT) | instid1(VALU_DEP_4)
	v_fma_f64 v[94:95], v[105:106], s[0:1], v[94:95]
	v_fma_f64 v[4:5], v[0:1], s[14:15], v[4:5]
	s_delay_alu instid0(VALU_DEP_4) | instskip(SKIP_4) | instid1(VALU_DEP_4)
	v_fma_f64 v[0:1], v[0:1], s[14:15], v[92:93]
	v_add_f64_e32 v[92:93], v[84:85], v[88:89]
	v_fma_f64 v[6:7], v[2:3], s[14:15], v[6:7]
	v_fma_f64 v[2:3], v[2:3], s[14:15], v[94:95]
	v_add_f64_e32 v[94:95], v[86:87], v[90:91]
	v_fma_f64 v[92:93], v[92:93], -0.5, v[80:81]
	v_add_f64_e32 v[80:81], v[80:81], v[84:85]
	s_delay_alu instid0(VALU_DEP_3) | instskip(SKIP_2) | instid1(VALU_DEP_4)
	v_fma_f64 v[94:95], v[94:95], -0.5, v[82:83]
	v_add_f64_e32 v[82:83], v[82:83], v[86:87]
	v_add_f64_e64 v[86:87], v[76:77], -v[86:87]
	v_add_f64_e32 v[80:81], v[80:81], v[72:73]
	v_add_f64_e64 v[72:73], v[72:73], -v[84:85]
	v_fma_f64 v[84:85], v[101:102], s[12:13], v[92:93]
	v_fma_f64 v[92:93], v[101:102], s[8:9], v[92:93]
	v_add_f64_e32 v[82:83], v[82:83], v[76:77]
	v_add_f64_e32 v[76:77], v[80:81], v[78:79]
	s_delay_alu instid0(VALU_DEP_2) | instskip(SKIP_1) | instid1(VALU_DEP_3)
	v_add_f64_e32 v[80:81], v[82:83], v[74:75]
	v_add_f64_e64 v[82:83], v[78:79], -v[88:89]
	v_add_f64_e32 v[76:77], v[76:77], v[88:89]
	v_add_f64_e64 v[74:75], v[74:75], -v[90:91]
	v_fma_f64 v[88:89], v[105:106], s[12:13], v[94:95]
	v_add_f64_e32 v[78:79], v[80:81], v[90:91]
	v_fma_f64 v[80:81], v[105:106], s[8:9], v[94:95]
	v_add_f64_e32 v[82:83], v[72:73], v[82:83]
	v_fma_f64 v[72:73], v[99:100], s[0:1], v[84:85]
	v_fma_f64 v[84:85], v[99:100], s[2:3], v[92:93]
	v_add_f64_e32 v[86:87], v[86:87], v[74:75]
	v_fma_f64 v[88:89], v[103:104], s[0:1], v[88:89]
	v_add_f64_e64 v[105:106], v[62:63], -v[66:67]
	ds_store_b128 v162, v[76:79]
	v_fma_f64 v[74:75], v[103:104], s[2:3], v[80:81]
	v_add_f64_e64 v[103:104], v[54:55], -v[70:71]
	v_fma_f64 v[72:73], v[82:83], s[14:15], v[72:73]
	v_fma_f64 v[80:81], v[82:83], s[14:15], v[84:85]
	v_add_f64_e64 v[84:85], v[52:53], -v[60:61]
	v_fma_f64 v[82:83], v[86:87], s[14:15], v[88:89]
	v_add_f64_e32 v[88:89], v[60:61], v[64:65]
	v_fma_f64 v[74:75], v[86:87], s[14:15], v[74:75]
	v_add_f64_e64 v[86:87], v[68:69], -v[64:65]
	s_delay_alu instid0(VALU_DEP_1) | instskip(SKIP_2) | instid1(VALU_DEP_1)
	v_add_f64_e32 v[92:93], v[84:85], v[86:87]
	v_add_f64_e64 v[84:85], v[54:55], -v[62:63]
	v_add_f64_e64 v[86:87], v[70:71], -v[66:67]
	v_add_f64_e32 v[94:95], v[84:85], v[86:87]
	ds_load_b128 v[84:87], v162 offset:1040
	s_wait_dscnt 0x0
	v_fma_f64 v[99:100], v[88:89], -0.5, v[84:85]
	v_add_f64_e32 v[88:89], v[62:63], v[66:67]
	s_delay_alu instid0(VALU_DEP_1) | instskip(NEXT) | instid1(VALU_DEP_3)
	v_fma_f64 v[101:102], v[88:89], -0.5, v[86:87]
	v_fma_f64 v[88:89], v[103:104], s[8:9], v[99:100]
	v_fma_f64 v[99:100], v[103:104], s[12:13], v[99:100]
	s_delay_alu instid0(VALU_DEP_3) | instskip(SKIP_1) | instid1(VALU_DEP_4)
	v_fma_f64 v[90:91], v[107:108], s[12:13], v[101:102]
	v_fma_f64 v[101:102], v[107:108], s[8:9], v[101:102]
	;; [unrolled: 1-line block ×3, first 2 shown]
	s_delay_alu instid0(VALU_DEP_4) | instskip(NEXT) | instid1(VALU_DEP_4)
	v_fma_f64 v[99:100], v[105:106], s[2:3], v[99:100]
	v_fma_f64 v[90:91], v[109:110], s[2:3], v[90:91]
	s_delay_alu instid0(VALU_DEP_4) | instskip(NEXT) | instid1(VALU_DEP_4)
	v_fma_f64 v[101:102], v[109:110], s[0:1], v[101:102]
	v_fma_f64 v[88:89], v[92:93], s[14:15], v[88:89]
	s_delay_alu instid0(VALU_DEP_4) | instskip(SKIP_4) | instid1(VALU_DEP_4)
	v_fma_f64 v[92:93], v[92:93], s[14:15], v[99:100]
	v_add_f64_e32 v[99:100], v[52:53], v[68:69]
	v_fma_f64 v[90:91], v[94:95], s[14:15], v[90:91]
	v_fma_f64 v[94:95], v[94:95], s[14:15], v[101:102]
	v_add_f64_e32 v[101:102], v[54:55], v[70:71]
	v_fma_f64 v[99:100], v[99:100], -0.5, v[84:85]
	v_add_f64_e32 v[84:85], v[84:85], v[52:53]
	s_delay_alu instid0(VALU_DEP_3) | instskip(SKIP_1) | instid1(VALU_DEP_4)
	v_fma_f64 v[101:102], v[101:102], -0.5, v[86:87]
	v_add_f64_e32 v[86:87], v[86:87], v[54:55]
	v_fma_f64 v[111:112], v[105:106], s[12:13], v[99:100]
	s_delay_alu instid0(VALU_DEP_4)
	v_add_f64_e32 v[84:85], v[84:85], v[60:61]
	v_add_f64_e64 v[60:61], v[60:61], -v[52:53]
	v_fma_f64 v[99:100], v[105:106], s[8:9], v[99:100]
	v_add_f64_e32 v[52:53], v[86:87], v[62:63]
	v_add_f64_e64 v[62:63], v[62:63], -v[54:55]
	v_add_f64_e32 v[54:55], v[84:85], v[64:65]
	v_add_f64_e64 v[64:65], v[64:65], -v[68:69]
	s_delay_alu instid0(VALU_DEP_4) | instskip(SKIP_1) | instid1(VALU_DEP_4)
	v_add_f64_e32 v[84:85], v[52:53], v[66:67]
	v_add_f64_e64 v[66:67], v[66:67], -v[70:71]
	v_add_f64_e32 v[52:53], v[54:55], v[68:69]
	v_fma_f64 v[68:69], v[109:110], s[8:9], v[101:102]
	v_add_f64_e32 v[64:65], v[60:61], v[64:65]
	v_fma_f64 v[60:61], v[103:104], s[0:1], v[111:112]
	v_add_f64_e64 v[111:112], v[46:47], -v[48:49]
	v_add_f64_e32 v[54:55], v[84:85], v[70:71]
	v_fma_f64 v[70:71], v[109:110], s[12:13], v[101:102]
	v_add_f64_e32 v[66:67], v[62:63], v[66:67]
	v_fma_f64 v[62:63], v[107:108], s[2:3], v[68:69]
	v_fma_f64 v[84:85], v[103:104], s[2:3], v[99:100]
	;; [unrolled: 1-line block ×3, first 2 shown]
	v_add_f64_e64 v[109:110], v[34:35], -v[58:59]
	v_fma_f64 v[68:69], v[107:108], s[0:1], v[70:71]
	v_add_f64_e64 v[70:71], v[48:49], -v[56:57]
	v_fma_f64 v[62:63], v[66:67], s[14:15], v[62:63]
	v_fma_f64 v[64:65], v[64:65], s[14:15], v[84:85]
	v_add_f64_e32 v[84:85], v[36:37], v[56:57]
	v_add_f64_e64 v[107:108], v[42:43], -v[50:51]
	v_fma_f64 v[66:67], v[66:67], s[14:15], v[68:69]
	v_add_f64_e64 v[68:69], v[46:47], -v[36:37]
	s_delay_alu instid0(VALU_DEP_1) | instskip(SKIP_2) | instid1(VALU_DEP_1)
	v_add_f64_e32 v[99:100], v[68:69], v[70:71]
	v_add_f64_e64 v[68:69], v[42:43], -v[34:35]
	v_add_f64_e64 v[70:71], v[50:51], -v[58:59]
	v_add_f64_e32 v[101:102], v[68:69], v[70:71]
	ds_load_b128 v[68:71], v162 offset:2080
	s_wait_dscnt 0x0
	v_fma_f64 v[103:104], v[84:85], -0.5, v[68:69]
	v_add_f64_e32 v[84:85], v[34:35], v[58:59]
	s_delay_alu instid0(VALU_DEP_1) | instskip(NEXT) | instid1(VALU_DEP_3)
	v_fma_f64 v[105:106], v[84:85], -0.5, v[70:71]
	v_fma_f64 v[84:85], v[107:108], s[12:13], v[103:104]
	v_fma_f64 v[103:104], v[107:108], s[8:9], v[103:104]
	s_delay_alu instid0(VALU_DEP_3) | instskip(SKIP_1) | instid1(VALU_DEP_4)
	v_fma_f64 v[86:87], v[111:112], s[8:9], v[105:106]
	v_fma_f64 v[105:106], v[111:112], s[12:13], v[105:106]
	;; [unrolled: 1-line block ×3, first 2 shown]
	s_delay_alu instid0(VALU_DEP_4) | instskip(NEXT) | instid1(VALU_DEP_4)
	v_fma_f64 v[103:104], v[109:110], s[2:3], v[103:104]
	v_fma_f64 v[86:87], v[113:114], s[2:3], v[86:87]
	s_delay_alu instid0(VALU_DEP_4) | instskip(NEXT) | instid1(VALU_DEP_4)
	v_fma_f64 v[105:106], v[113:114], s[0:1], v[105:106]
	v_fma_f64 v[84:85], v[99:100], s[14:15], v[84:85]
	s_delay_alu instid0(VALU_DEP_4) | instskip(SKIP_4) | instid1(VALU_DEP_4)
	v_fma_f64 v[99:100], v[99:100], s[14:15], v[103:104]
	v_add_f64_e32 v[103:104], v[46:47], v[48:49]
	v_fma_f64 v[86:87], v[101:102], s[14:15], v[86:87]
	v_fma_f64 v[101:102], v[101:102], s[14:15], v[105:106]
	v_add_f64_e32 v[105:106], v[42:43], v[50:51]
	v_fma_f64 v[103:104], v[103:104], -0.5, v[68:69]
	v_add_f64_e32 v[68:69], v[68:69], v[36:37]
	s_delay_alu instid0(VALU_DEP_3) | instskip(SKIP_1) | instid1(VALU_DEP_4)
	v_fma_f64 v[105:106], v[105:106], -0.5, v[70:71]
	v_add_f64_e32 v[70:71], v[70:71], v[34:35]
	v_fma_f64 v[115:116], v[109:110], s[8:9], v[103:104]
	s_delay_alu instid0(VALU_DEP_4)
	v_add_f64_e32 v[68:69], v[68:69], v[46:47]
	v_add_f64_e64 v[46:47], v[36:37], -v[46:47]
	v_fma_f64 v[103:104], v[109:110], s[12:13], v[103:104]
	v_add_f64_e32 v[36:37], v[70:71], v[42:43]
	v_add_f64_e64 v[42:43], v[34:35], -v[42:43]
	v_add_f64_e32 v[34:35], v[68:69], v[48:49]
	v_add_f64_e64 v[48:49], v[56:57], -v[48:49]
	v_fma_f64 v[70:71], v[107:108], s[2:3], v[103:104]
	v_add_f64_e32 v[36:37], v[36:37], v[50:51]
	v_add_f64_e64 v[50:51], v[58:59], -v[50:51]
	v_add_f64_e32 v[34:35], v[34:35], v[56:57]
	v_fma_f64 v[56:57], v[113:114], s[12:13], v[105:106]
	v_add_f64_e32 v[68:69], v[46:47], v[48:49]
	v_fma_f64 v[46:47], v[107:108], s[0:1], v[115:116]
	;; [unrolled: 2-line block ×4, first 2 shown]
	v_fma_f64 v[56:57], v[68:69], s[14:15], v[70:71]
	v_fma_f64 v[46:47], v[68:69], s[14:15], v[46:47]
	ds_load_b128 v[68:71], v162 offset:4160
	ds_load_b128 v[76:79], v162 offset:3120
	v_fma_f64 v[50:51], v[111:112], s[0:1], v[58:59]
	v_fma_f64 v[48:49], v[42:43], s[14:15], v[48:49]
	s_delay_alu instid0(VALU_DEP_2)
	v_fma_f64 v[58:59], v[42:43], s[14:15], v[50:51]
	ds_store_b128 v163, v[4:7] offset:5200
	ds_store_b128 v163, v[88:91] offset:6240
	;; [unrolled: 1-line block ×14, first 2 shown]
	v_add_f64_e64 v[0:1], v[12:13], -v[10:11]
	v_add_f64_e64 v[2:3], v[20:21], -v[22:23]
	v_add_f64_e64 v[42:43], v[18:19], -v[16:17]
	v_add_f64_e64 v[48:49], v[12:13], -v[20:21]
	v_add_f64_e64 v[46:47], v[8:9], -v[44:45]
	v_add_f64_e64 v[50:51], v[10:11], -v[22:23]
	s_wait_dscnt 0xe
	v_add_f64_e32 v[52:53], v[76:77], v[10:11]
	v_add_f64_e32 v[54:55], v[78:79], v[8:9]
	;; [unrolled: 1-line block ×3, first 2 shown]
	v_add_f64_e64 v[0:1], v[18:19], -v[8:9]
	v_add_f64_e64 v[2:3], v[16:17], -v[44:45]
	v_add_f64_e32 v[52:53], v[52:53], v[12:13]
	s_delay_alu instid0(VALU_DEP_2) | instskip(SKIP_1) | instid1(VALU_DEP_1)
	v_add_f64_e32 v[6:7], v[0:1], v[2:3]
	v_add_f64_e32 v[0:1], v[10:11], v[22:23]
	v_fma_f64 v[34:35], v[0:1], -0.5, v[76:77]
	v_add_f64_e32 v[0:1], v[8:9], v[44:45]
	s_delay_alu instid0(VALU_DEP_1) | instskip(NEXT) | instid1(VALU_DEP_3)
	v_fma_f64 v[36:37], v[0:1], -0.5, v[78:79]
	v_fma_f64 v[0:1], v[42:43], s[12:13], v[34:35]
	v_fma_f64 v[34:35], v[42:43], s[8:9], v[34:35]
	s_delay_alu instid0(VALU_DEP_3) | instskip(SKIP_1) | instid1(VALU_DEP_4)
	v_fma_f64 v[2:3], v[48:49], s[8:9], v[36:37]
	v_fma_f64 v[36:37], v[48:49], s[12:13], v[36:37]
	;; [unrolled: 1-line block ×3, first 2 shown]
	s_delay_alu instid0(VALU_DEP_4) | instskip(NEXT) | instid1(VALU_DEP_4)
	v_fma_f64 v[34:35], v[46:47], s[2:3], v[34:35]
	v_fma_f64 v[2:3], v[50:51], s[2:3], v[2:3]
	s_delay_alu instid0(VALU_DEP_4) | instskip(NEXT) | instid1(VALU_DEP_4)
	v_fma_f64 v[36:37], v[50:51], s[0:1], v[36:37]
	v_fma_f64 v[0:1], v[4:5], s[14:15], v[0:1]
	s_delay_alu instid0(VALU_DEP_4)
	v_fma_f64 v[4:5], v[4:5], s[14:15], v[34:35]
	v_add_f64_e32 v[34:35], v[12:13], v[20:21]
	v_add_f64_e64 v[12:13], v[10:11], -v[12:13]
	v_add_f64_e32 v[10:11], v[54:55], v[18:19]
	v_mad_co_u64_u32 v[54:55], null, s4, v214, 0
	v_fma_f64 v[2:3], v[6:7], s[14:15], v[2:3]
	v_fma_f64 v[6:7], v[6:7], s[14:15], v[36:37]
	v_add_f64_e32 v[36:37], v[18:19], v[16:17]
	v_add_f64_e64 v[18:19], v[8:9], -v[18:19]
	v_fma_f64 v[34:35], v[34:35], -0.5, v[76:77]
	v_add_f64_e32 v[8:9], v[52:53], v[20:21]
	v_add_f64_e32 v[10:11], v[10:11], v[16:17]
	v_add_f64_e64 v[20:21], v[22:23], -v[20:21]
	v_add_f64_e64 v[16:17], v[44:45], -v[16:17]
	v_fma_f64 v[36:37], v[36:37], -0.5, v[78:79]
	v_fma_f64 v[56:57], v[46:47], s[8:9], v[34:35]
	v_fma_f64 v[34:35], v[46:47], s[12:13], v[34:35]
	v_add_f64_e32 v[8:9], v[8:9], v[22:23]
	v_add_f64_e32 v[12:13], v[12:13], v[20:21]
	;; [unrolled: 1-line block ×3, first 2 shown]
	v_fma_f64 v[22:23], v[50:51], s[12:13], v[36:37]
	v_fma_f64 v[36:37], v[50:51], s[8:9], v[36:37]
	;; [unrolled: 1-line block ×4, first 2 shown]
	v_add_f64_e32 v[42:43], v[18:19], v[16:17]
	v_fma_f64 v[18:19], v[48:49], s[2:3], v[22:23]
	v_fma_f64 v[22:23], v[48:49], s[0:1], v[36:37]
	;; [unrolled: 1-line block ×4, first 2 shown]
	v_add_f64_e64 v[12:13], v[26:27], -v[30:31]
	v_add_f64_e32 v[34:35], v[70:71], v[24:25]
	v_fma_f64 v[18:19], v[42:43], s[14:15], v[18:19]
	v_fma_f64 v[22:23], v[42:43], s[14:15], v[22:23]
	ds_store_b128 v163, v[8:11] offset:3120
	ds_store_b128 v97, v[16:19] offset:5200
	;; [unrolled: 1-line block ×5, first 2 shown]
	v_add_f64_e64 v[0:1], v[28:29], -v[14:15]
	v_add_f64_e64 v[2:3], v[32:33], -v[38:39]
	;; [unrolled: 1-line block ×5, first 2 shown]
	s_delay_alu instid0(VALU_DEP_4) | instskip(SKIP_2) | instid1(VALU_DEP_1)
	v_add_f64_e32 v[4:5], v[0:1], v[2:3]
	v_add_f64_e64 v[0:1], v[26:27], -v[24:25]
	v_add_f64_e64 v[2:3], v[30:31], -v[40:41]
	v_add_f64_e32 v[6:7], v[0:1], v[2:3]
	v_add_f64_e32 v[0:1], v[14:15], v[38:39]
	s_delay_alu instid0(VALU_DEP_1) | instskip(SKIP_2) | instid1(VALU_DEP_2)
	v_fma_f64 v[8:9], v[0:1], -0.5, v[68:69]
	v_add_f64_e32 v[0:1], v[24:25], v[40:41]
	v_add_f64_e64 v[24:25], v[24:25], -v[26:27]
	v_fma_f64 v[10:11], v[0:1], -0.5, v[70:71]
	s_delay_alu instid0(VALU_DEP_4) | instskip(SKIP_1) | instid1(VALU_DEP_3)
	v_fma_f64 v[0:1], v[12:13], s[12:13], v[8:9]
	v_fma_f64 v[8:9], v[12:13], s[8:9], v[8:9]
	;; [unrolled: 1-line block ×4, first 2 shown]
	s_delay_alu instid0(VALU_DEP_4) | instskip(NEXT) | instid1(VALU_DEP_4)
	v_fma_f64 v[0:1], v[16:17], s[0:1], v[0:1]
	v_fma_f64 v[8:9], v[16:17], s[2:3], v[8:9]
	s_delay_alu instid0(VALU_DEP_4) | instskip(NEXT) | instid1(VALU_DEP_4)
	v_fma_f64 v[2:3], v[20:21], s[2:3], v[2:3]
	v_fma_f64 v[10:11], v[20:21], s[0:1], v[10:11]
	s_delay_alu instid0(VALU_DEP_4) | instskip(NEXT) | instid1(VALU_DEP_4)
	v_fma_f64 v[0:1], v[4:5], s[14:15], v[0:1]
	v_fma_f64 v[4:5], v[4:5], s[14:15], v[8:9]
	v_add_f64_e32 v[8:9], v[28:29], v[32:33]
	v_fma_f64 v[2:3], v[6:7], s[14:15], v[2:3]
	v_fma_f64 v[6:7], v[6:7], s[14:15], v[10:11]
	v_add_f64_e32 v[10:11], v[26:27], v[30:31]
	s_delay_alu instid0(VALU_DEP_4) | instskip(NEXT) | instid1(VALU_DEP_2)
	v_fma_f64 v[8:9], v[8:9], -0.5, v[68:69]
	v_fma_f64 v[22:23], v[10:11], -0.5, v[70:71]
	v_add_f64_e32 v[10:11], v[68:69], v[14:15]
	v_add_f64_e64 v[14:15], v[14:15], -v[28:29]
	s_delay_alu instid0(VALU_DEP_2) | instskip(SKIP_3) | instid1(VALU_DEP_4)
	v_add_f64_e32 v[10:11], v[10:11], v[28:29]
	v_fma_f64 v[28:29], v[16:17], s[8:9], v[8:9]
	v_fma_f64 v[16:17], v[16:17], s[12:13], v[8:9]
	v_add_f64_e32 v[8:9], v[34:35], v[26:27]
	v_add_f64_e32 v[10:11], v[10:11], v[32:33]
	v_add_f64_e64 v[32:33], v[38:39], -v[32:33]
	s_delay_alu instid0(VALU_DEP_4) | instskip(NEXT) | instid1(VALU_DEP_4)
	v_fma_f64 v[16:17], v[12:13], s[2:3], v[16:17]
	v_add_f64_e32 v[26:27], v[8:9], v[30:31]
	s_delay_alu instid0(VALU_DEP_4) | instskip(NEXT) | instid1(VALU_DEP_2)
	v_add_f64_e32 v[8:9], v[10:11], v[38:39]
	v_add_f64_e32 v[10:11], v[26:27], v[40:41]
	v_add_f64_e64 v[26:27], v[40:41], -v[30:31]
	v_fma_f64 v[30:31], v[20:21], s[12:13], v[22:23]
	v_fma_f64 v[20:21], v[20:21], s[8:9], v[22:23]
	v_add_f64_e32 v[22:23], v[14:15], v[32:33]
	v_fma_f64 v[14:15], v[12:13], s[0:1], v[28:29]
	v_add_f64_e32 v[24:25], v[24:25], v[26:27]
	v_fma_f64 v[26:27], v[18:19], s[2:3], v[30:31]
	v_fma_f64 v[18:19], v[18:19], s[0:1], v[20:21]
	;; [unrolled: 1-line block ×4, first 2 shown]
	s_mov_b32 s2, 0x6615bd85
	s_mov_b32 s3, 0x3f442a38
	s_delay_alu instid0(VALU_DEP_4) | instskip(NEXT) | instid1(VALU_DEP_4)
	v_fma_f64 v[14:15], v[24:25], s[14:15], v[26:27]
	v_fma_f64 v[18:19], v[24:25], s[14:15], v[18:19]
	ds_store_b128 v163, v[8:11] offset:4160
	ds_store_b128 v96, v[12:15] offset:5200
	;; [unrolled: 1-line block ×5, first 2 shown]
	global_wb scope:SCOPE_SE
	s_wait_dscnt 0x0
	s_barrier_signal -1
	s_barrier_wait -1
	global_inv scope:SCOPE_SE
	s_clause 0x3
	scratch_load_b128 v[6:9], off, off offset:160 th:TH_LOAD_LU
	scratch_load_b128 v[10:13], off, off offset:176 th:TH_LOAD_LU
	;; [unrolled: 1-line block ×4, first 2 shown]
	ds_load_b128 v[0:3], v162
	s_clause 0x8
	scratch_load_b128 v[22:25], off, off offset:64 th:TH_LOAD_LU
	scratch_load_b128 v[26:29], off, off offset:80 th:TH_LOAD_LU
	;; [unrolled: 1-line block ×9, first 2 shown]
	s_wait_loadcnt_dscnt 0xc00
	v_mul_f64_e32 v[4:5], v[8:9], v[2:3]
	s_delay_alu instid0(VALU_DEP_1) | instskip(SKIP_1) | instid1(VALU_DEP_1)
	v_fma_f64 v[4:5], v[6:7], v[0:1], v[4:5]
	v_mul_f64_e32 v[0:1], v[8:9], v[0:1]
	v_fma_f64 v[6:7], v[6:7], v[2:3], -v[0:1]
	ds_load_b128 v[0:3], v162 offset:2000
	s_wait_loadcnt_dscnt 0xb00
	v_mul_f64_e32 v[8:9], v[12:13], v[2:3]
	s_delay_alu instid0(VALU_DEP_1) | instskip(SKIP_1) | instid1(VALU_DEP_1)
	v_fma_f64 v[8:9], v[10:11], v[0:1], v[8:9]
	v_mul_f64_e32 v[0:1], v[12:13], v[0:1]
	v_fma_f64 v[10:11], v[10:11], v[2:3], -v[0:1]
	ds_load_b128 v[0:3], v162 offset:4000
	;; [unrolled: 7-line block ×11, first 2 shown]
	s_wait_loadcnt_dscnt 0x100
	v_mul_f64_e32 v[48:49], v[52:53], v[2:3]
	s_delay_alu instid0(VALU_DEP_1) | instskip(SKIP_1) | instid1(VALU_DEP_1)
	v_fma_f64 v[48:49], v[50:51], v[0:1], v[48:49]
	v_mul_f64_e32 v[0:1], v[52:53], v[0:1]
	v_fma_f64 v[50:51], v[50:51], v[2:3], -v[0:1]
	scratch_load_b64 v[0:1], off, off offset:24 th:TH_LOAD_LU ; 8-byte Folded Reload
	s_wait_alu 0xfffe
	v_mul_f64_e32 v[2:3], s[2:3], v[6:7]
	s_wait_loadcnt 0x0
	v_mov_b32_e32 v1, v0
	s_delay_alu instid0(VALU_DEP_1) | instskip(NEXT) | instid1(VALU_DEP_1)
	v_mad_co_u64_u32 v[52:53], null, s6, v1, 0
	v_mov_b32_e32 v0, v53
	s_delay_alu instid0(VALU_DEP_1) | instskip(NEXT) | instid1(VALU_DEP_1)
	v_mad_co_u64_u32 v[0:1], null, s7, v1, v[0:1]
	v_mov_b32_e32 v53, v0
	v_mul_f64_e32 v[0:1], s[2:3], v[4:5]
	v_mov_b32_e32 v4, v55
	s_delay_alu instid0(VALU_DEP_3) | instskip(NEXT) | instid1(VALU_DEP_2)
	v_lshlrev_b64_e32 v[6:7], 4, v[52:53]
	v_mad_co_u64_u32 v[4:5], null, s5, v214, v[4:5]
	s_delay_alu instid0(VALU_DEP_1) | instskip(SKIP_1) | instid1(VALU_DEP_4)
	v_mov_b32_e32 v55, v4
	v_mul_f64_e32 v[4:5], s[2:3], v[8:9]
	v_add_co_u32 v8, s0, s10, v6
	s_wait_alu 0xf1ff
	v_add_co_ci_u32_e64 v9, s0, s11, v7, s0
	v_lshlrev_b64_e32 v[52:53], 4, v[54:55]
	v_mul_f64_e32 v[6:7], s[2:3], v[10:11]
	s_delay_alu instid0(VALU_DEP_2) | instskip(SKIP_1) | instid1(VALU_DEP_3)
	v_add_co_u32 v52, s0, v8, v52
	s_wait_alu 0xf1ff
	v_add_co_ci_u32_e64 v53, s0, v9, v53, s0
	ds_load_b128 v[8:11], v162 offset:24000
	s_mul_u64 s[0:1], s[4:5], 0x7d
	s_wait_alu 0xfffe
	s_lshl_b64 s[6:7], s[0:1], 4
	global_store_b128 v[52:53], v[0:3], off
	s_wait_alu 0xfffe
	v_add_co_u32 v52, s0, v52, s6
	s_wait_alu 0xf1ff
	v_add_co_ci_u32_e64 v53, s0, s7, v53, s0
	s_wait_dscnt 0x0
	v_mul_f64_e32 v[0:1], v[58:59], v[10:11]
	v_mul_f64_e32 v[2:3], v[58:59], v[8:9]
	global_store_b128 v[52:53], v[4:7], off
	v_mul_f64_e32 v[4:5], s[2:3], v[16:17]
	v_mul_f64_e32 v[6:7], s[2:3], v[18:19]
	v_add_co_u32 v52, s0, v52, s6
	s_wait_alu 0xf1ff
	v_add_co_ci_u32_e64 v53, s0, s7, v53, s0
	v_mul_f64_e32 v[16:17], s[2:3], v[28:29]
	s_delay_alu instid0(VALU_DEP_3) | instskip(SKIP_1) | instid1(VALU_DEP_3)
	v_add_co_u32 v58, s0, v52, s6
	s_wait_alu 0xf1ff
	v_add_co_ci_u32_e64 v59, s0, s7, v53, s0
	v_mul_f64_e32 v[18:19], s[2:3], v[30:31]
	s_delay_alu instid0(VALU_DEP_3) | instskip(SKIP_1) | instid1(VALU_DEP_3)
	;; [unrolled: 5-line block ×3, first 2 shown]
	v_add_co_u32 v62, s0, v60, s6
	s_wait_alu 0xf1ff
	v_add_co_ci_u32_e64 v63, s0, s7, v61, s0
	v_mul_f64_e32 v[30:31], s[2:3], v[42:43]
	v_fma_f64 v[54:55], v[56:57], v[8:9], v[0:1]
	v_fma_f64 v[56:57], v[56:57], v[10:11], -v[2:3]
	v_mul_f64_e32 v[0:1], s[2:3], v[12:13]
	v_mul_f64_e32 v[2:3], s[2:3], v[14:15]
	;; [unrolled: 1-line block ×11, first 2 shown]
	v_add_co_u32 v44, s0, v62, s6
	v_mul_f64_e32 v[34:35], s[2:3], v[46:47]
	v_mul_f64_e32 v[36:37], s[2:3], v[48:49]
	;; [unrolled: 1-line block ×3, first 2 shown]
	s_wait_alu 0xf1ff
	v_add_co_ci_u32_e64 v45, s0, s7, v63, s0
	v_mul_f64_e32 v[40:41], s[2:3], v[54:55]
	v_mul_f64_e32 v[42:43], s[2:3], v[56:57]
	global_store_b128 v[52:53], v[0:3], off
	v_add_co_u32 v0, s0, v44, s6
	s_wait_alu 0xf1ff
	v_add_co_ci_u32_e64 v1, s0, s7, v45, s0
	global_store_b128 v[58:59], v[4:7], off
	v_add_co_u32 v2, s0, v0, s6
	s_wait_alu 0xf1ff
	v_add_co_ci_u32_e64 v3, s0, s7, v1, s0
	;; [unrolled: 4-line block ×6, first 2 shown]
	global_store_b128 v[2:3], v[24:27], off
	global_store_b128 v[4:5], v[28:31], off
	;; [unrolled: 1-line block ×5, first 2 shown]
	s_and_b32 exec_lo, exec_lo, vcc_lo
	s_cbranch_execz .LBB0_15
; %bb.14:
	scratch_load_b64 v[16:17], off, off th:TH_LOAD_LU ; 8-byte Folded Reload
	ds_load_b128 v[6:9], v163 offset:1040
	v_mad_co_u64_u32 v[12:13], null, 0xffffa650, s4, v[0:1]
	s_mul_i32 s0, s5, 0xffffa650
	s_wait_alu 0xfffe
	s_sub_co_i32 s0, s0, s4
	s_wait_alu 0xfffe
	s_delay_alu instid0(VALU_DEP_1)
	v_add_nc_u32_e32 v13, s0, v13
	s_wait_loadcnt 0x0
	global_load_b128 v[2:5], v[16:17], off offset:1040
	s_wait_loadcnt_dscnt 0x0
	v_mul_f64_e32 v[10:11], v[8:9], v[4:5]
	v_mul_f64_e32 v[4:5], v[6:7], v[4:5]
	s_delay_alu instid0(VALU_DEP_2) | instskip(NEXT) | instid1(VALU_DEP_2)
	v_fma_f64 v[6:7], v[6:7], v[2:3], v[10:11]
	v_fma_f64 v[4:5], v[2:3], v[8:9], -v[4:5]
	s_delay_alu instid0(VALU_DEP_2) | instskip(NEXT) | instid1(VALU_DEP_2)
	v_mul_f64_e32 v[2:3], s[2:3], v[6:7]
	v_mul_f64_e32 v[4:5], s[2:3], v[4:5]
	global_store_b128 v[12:13], v[2:5], off
	global_load_b128 v[0:3], v[16:17], off offset:3040
	ds_load_b128 v[4:7], v162 offset:3040
	ds_load_b128 v[8:11], v162 offset:5040
	s_wait_loadcnt_dscnt 0x1
	v_mul_f64_e32 v[14:15], v[6:7], v[2:3]
	v_mul_f64_e32 v[2:3], v[4:5], v[2:3]
	s_delay_alu instid0(VALU_DEP_2) | instskip(NEXT) | instid1(VALU_DEP_2)
	v_fma_f64 v[4:5], v[4:5], v[0:1], v[14:15]
	v_fma_f64 v[2:3], v[0:1], v[6:7], -v[2:3]
	s_delay_alu instid0(VALU_DEP_2) | instskip(NEXT) | instid1(VALU_DEP_2)
	v_mul_f64_e32 v[0:1], s[2:3], v[4:5]
	v_mul_f64_e32 v[2:3], s[2:3], v[2:3]
	v_add_co_u32 v4, vcc_lo, v12, s6
	s_wait_alu 0xfffd
	v_add_co_ci_u32_e32 v5, vcc_lo, s7, v13, vcc_lo
	s_delay_alu instid0(VALU_DEP_2) | instskip(SKIP_1) | instid1(VALU_DEP_2)
	v_add_co_u32 v12, vcc_lo, v4, s6
	s_wait_alu 0xfffd
	v_add_co_ci_u32_e32 v13, vcc_lo, s7, v5, vcc_lo
	global_store_b128 v[4:5], v[0:3], off
	global_load_b128 v[0:3], v[16:17], off offset:5040
	s_wait_loadcnt_dscnt 0x0
	v_mul_f64_e32 v[6:7], v[10:11], v[2:3]
	v_mul_f64_e32 v[2:3], v[8:9], v[2:3]
	s_delay_alu instid0(VALU_DEP_2) | instskip(NEXT) | instid1(VALU_DEP_2)
	v_fma_f64 v[6:7], v[8:9], v[0:1], v[6:7]
	v_fma_f64 v[2:3], v[0:1], v[10:11], -v[2:3]
	s_delay_alu instid0(VALU_DEP_2) | instskip(NEXT) | instid1(VALU_DEP_2)
	v_mul_f64_e32 v[0:1], s[2:3], v[6:7]
	v_mul_f64_e32 v[2:3], s[2:3], v[2:3]
	global_store_b128 v[12:13], v[0:3], off
	global_load_b128 v[0:3], v[16:17], off offset:7040
	ds_load_b128 v[4:7], v162 offset:7040
	ds_load_b128 v[8:11], v162 offset:9040
	s_wait_loadcnt_dscnt 0x1
	v_mul_f64_e32 v[14:15], v[6:7], v[2:3]
	v_mul_f64_e32 v[2:3], v[4:5], v[2:3]
	s_delay_alu instid0(VALU_DEP_2) | instskip(NEXT) | instid1(VALU_DEP_2)
	v_fma_f64 v[4:5], v[4:5], v[0:1], v[14:15]
	v_fma_f64 v[2:3], v[0:1], v[6:7], -v[2:3]
	s_delay_alu instid0(VALU_DEP_2) | instskip(NEXT) | instid1(VALU_DEP_2)
	v_mul_f64_e32 v[0:1], s[2:3], v[4:5]
	v_mul_f64_e32 v[2:3], s[2:3], v[2:3]
	v_add_co_u32 v4, vcc_lo, v12, s6
	s_wait_alu 0xfffd
	v_add_co_ci_u32_e32 v5, vcc_lo, s7, v13, vcc_lo
	s_delay_alu instid0(VALU_DEP_2) | instskip(SKIP_1) | instid1(VALU_DEP_2)
	v_add_co_u32 v12, vcc_lo, v4, s6
	s_wait_alu 0xfffd
	v_add_co_ci_u32_e32 v13, vcc_lo, s7, v5, vcc_lo
	global_store_b128 v[4:5], v[0:3], off
	;; [unrolled: 31-line block ×5, first 2 shown]
	global_load_b128 v[0:3], v[16:17], off offset:21040
	s_wait_loadcnt_dscnt 0x0
	v_mul_f64_e32 v[6:7], v[10:11], v[2:3]
	v_mul_f64_e32 v[2:3], v[8:9], v[2:3]
	s_delay_alu instid0(VALU_DEP_2) | instskip(NEXT) | instid1(VALU_DEP_2)
	v_fma_f64 v[6:7], v[8:9], v[0:1], v[6:7]
	v_fma_f64 v[2:3], v[0:1], v[10:11], -v[2:3]
	s_delay_alu instid0(VALU_DEP_2) | instskip(NEXT) | instid1(VALU_DEP_2)
	v_mul_f64_e32 v[0:1], s[2:3], v[6:7]
	v_mul_f64_e32 v[2:3], s[2:3], v[2:3]
	global_store_b128 v[12:13], v[0:3], off
	global_load_b128 v[0:3], v[16:17], off offset:23040
	ds_load_b128 v[4:7], v162 offset:23040
	ds_load_b128 v[8:11], v162 offset:25040
	s_wait_loadcnt_dscnt 0x1
	v_mul_f64_e32 v[14:15], v[6:7], v[2:3]
	v_mul_f64_e32 v[2:3], v[4:5], v[2:3]
	s_delay_alu instid0(VALU_DEP_2) | instskip(NEXT) | instid1(VALU_DEP_2)
	v_fma_f64 v[4:5], v[4:5], v[0:1], v[14:15]
	v_fma_f64 v[2:3], v[0:1], v[6:7], -v[2:3]
	s_delay_alu instid0(VALU_DEP_2) | instskip(NEXT) | instid1(VALU_DEP_2)
	v_mul_f64_e32 v[0:1], s[2:3], v[4:5]
	v_mul_f64_e32 v[2:3], s[2:3], v[2:3]
	v_add_co_u32 v4, vcc_lo, v12, s6
	s_wait_alu 0xfffd
	v_add_co_ci_u32_e32 v5, vcc_lo, s7, v13, vcc_lo
	global_store_b128 v[4:5], v[0:3], off
	global_load_b128 v[0:3], v[16:17], off offset:25040
	v_add_co_u32 v4, vcc_lo, v4, s6
	s_wait_alu 0xfffd
	v_add_co_ci_u32_e32 v5, vcc_lo, s7, v5, vcc_lo
	s_wait_loadcnt_dscnt 0x0
	v_mul_f64_e32 v[6:7], v[10:11], v[2:3]
	v_mul_f64_e32 v[2:3], v[8:9], v[2:3]
	s_delay_alu instid0(VALU_DEP_2) | instskip(NEXT) | instid1(VALU_DEP_2)
	v_fma_f64 v[6:7], v[8:9], v[0:1], v[6:7]
	v_fma_f64 v[2:3], v[0:1], v[10:11], -v[2:3]
	s_delay_alu instid0(VALU_DEP_2) | instskip(NEXT) | instid1(VALU_DEP_2)
	v_mul_f64_e32 v[0:1], s[2:3], v[6:7]
	v_mul_f64_e32 v[2:3], s[2:3], v[2:3]
	global_store_b128 v[4:5], v[0:3], off
.LBB0_15:
	s_nop 0
	s_sendmsg sendmsg(MSG_DEALLOC_VGPRS)
	s_endpgm
	.section	.rodata,"a",@progbits
	.p2align	6, 0x0
	.amdhsa_kernel bluestein_single_back_len1625_dim1_dp_op_CI_CI
		.amdhsa_group_segment_fixed_size 52000
		.amdhsa_private_segment_fixed_size 900
		.amdhsa_kernarg_size 104
		.amdhsa_user_sgpr_count 2
		.amdhsa_user_sgpr_dispatch_ptr 0
		.amdhsa_user_sgpr_queue_ptr 0
		.amdhsa_user_sgpr_kernarg_segment_ptr 1
		.amdhsa_user_sgpr_dispatch_id 0
		.amdhsa_user_sgpr_private_segment_size 0
		.amdhsa_wavefront_size32 1
		.amdhsa_uses_dynamic_stack 0
		.amdhsa_enable_private_segment 1
		.amdhsa_system_sgpr_workgroup_id_x 1
		.amdhsa_system_sgpr_workgroup_id_y 0
		.amdhsa_system_sgpr_workgroup_id_z 0
		.amdhsa_system_sgpr_workgroup_info 0
		.amdhsa_system_vgpr_workitem_id 0
		.amdhsa_next_free_vgpr 256
		.amdhsa_next_free_sgpr 48
		.amdhsa_reserve_vcc 1
		.amdhsa_float_round_mode_32 0
		.amdhsa_float_round_mode_16_64 0
		.amdhsa_float_denorm_mode_32 3
		.amdhsa_float_denorm_mode_16_64 3
		.amdhsa_fp16_overflow 0
		.amdhsa_workgroup_processor_mode 1
		.amdhsa_memory_ordered 1
		.amdhsa_forward_progress 0
		.amdhsa_round_robin_scheduling 0
		.amdhsa_exception_fp_ieee_invalid_op 0
		.amdhsa_exception_fp_denorm_src 0
		.amdhsa_exception_fp_ieee_div_zero 0
		.amdhsa_exception_fp_ieee_overflow 0
		.amdhsa_exception_fp_ieee_underflow 0
		.amdhsa_exception_fp_ieee_inexact 0
		.amdhsa_exception_int_div_zero 0
	.end_amdhsa_kernel
	.text
.Lfunc_end0:
	.size	bluestein_single_back_len1625_dim1_dp_op_CI_CI, .Lfunc_end0-bluestein_single_back_len1625_dim1_dp_op_CI_CI
                                        ; -- End function
	.section	.AMDGPU.csdata,"",@progbits
; Kernel info:
; codeLenInByte = 41028
; NumSgprs: 50
; NumVgprs: 256
; ScratchSize: 900
; MemoryBound: 0
; FloatMode: 240
; IeeeMode: 1
; LDSByteSize: 52000 bytes/workgroup (compile time only)
; SGPRBlocks: 6
; VGPRBlocks: 31
; NumSGPRsForWavesPerEU: 50
; NumVGPRsForWavesPerEU: 256
; Occupancy: 3
; WaveLimiterHint : 1
; COMPUTE_PGM_RSRC2:SCRATCH_EN: 1
; COMPUTE_PGM_RSRC2:USER_SGPR: 2
; COMPUTE_PGM_RSRC2:TRAP_HANDLER: 0
; COMPUTE_PGM_RSRC2:TGID_X_EN: 1
; COMPUTE_PGM_RSRC2:TGID_Y_EN: 0
; COMPUTE_PGM_RSRC2:TGID_Z_EN: 0
; COMPUTE_PGM_RSRC2:TIDIG_COMP_CNT: 0
	.text
	.p2alignl 7, 3214868480
	.fill 96, 4, 3214868480
	.type	__hip_cuid_1b8598a638fedeb4,@object ; @__hip_cuid_1b8598a638fedeb4
	.section	.bss,"aw",@nobits
	.globl	__hip_cuid_1b8598a638fedeb4
__hip_cuid_1b8598a638fedeb4:
	.byte	0                               ; 0x0
	.size	__hip_cuid_1b8598a638fedeb4, 1

	.ident	"AMD clang version 19.0.0git (https://github.com/RadeonOpenCompute/llvm-project roc-6.4.0 25133 c7fe45cf4b819c5991fe208aaa96edf142730f1d)"
	.section	".note.GNU-stack","",@progbits
	.addrsig
	.addrsig_sym __hip_cuid_1b8598a638fedeb4
	.amdgpu_metadata
---
amdhsa.kernels:
  - .args:
      - .actual_access:  read_only
        .address_space:  global
        .offset:         0
        .size:           8
        .value_kind:     global_buffer
      - .actual_access:  read_only
        .address_space:  global
        .offset:         8
        .size:           8
        .value_kind:     global_buffer
      - .actual_access:  read_only
        .address_space:  global
        .offset:         16
        .size:           8
        .value_kind:     global_buffer
      - .actual_access:  read_only
        .address_space:  global
        .offset:         24
        .size:           8
        .value_kind:     global_buffer
      - .actual_access:  read_only
        .address_space:  global
        .offset:         32
        .size:           8
        .value_kind:     global_buffer
      - .offset:         40
        .size:           8
        .value_kind:     by_value
      - .address_space:  global
        .offset:         48
        .size:           8
        .value_kind:     global_buffer
      - .address_space:  global
        .offset:         56
        .size:           8
        .value_kind:     global_buffer
      - .address_space:  global
        .offset:         64
        .size:           8
        .value_kind:     global_buffer
      - .address_space:  global
        .offset:         72
        .size:           8
        .value_kind:     global_buffer
      - .offset:         80
        .size:           4
        .value_kind:     by_value
      - .address_space:  global
        .offset:         88
        .size:           8
        .value_kind:     global_buffer
      - .address_space:  global
        .offset:         96
        .size:           8
        .value_kind:     global_buffer
    .group_segment_fixed_size: 52000
    .kernarg_segment_align: 8
    .kernarg_segment_size: 104
    .language:       OpenCL C
    .language_version:
      - 2
      - 0
    .max_flat_workgroup_size: 130
    .name:           bluestein_single_back_len1625_dim1_dp_op_CI_CI
    .private_segment_fixed_size: 900
    .sgpr_count:     50
    .sgpr_spill_count: 0
    .symbol:         bluestein_single_back_len1625_dim1_dp_op_CI_CI.kd
    .uniform_work_group_size: 1
    .uses_dynamic_stack: false
    .vgpr_count:     256
    .vgpr_spill_count: 228
    .wavefront_size: 32
    .workgroup_processor_mode: 1
amdhsa.target:   amdgcn-amd-amdhsa--gfx1201
amdhsa.version:
  - 1
  - 2
...

	.end_amdgpu_metadata
